;; amdgpu-corpus repo=ROCm/rocFFT kind=compiled arch=gfx950 opt=O3
	.text
	.amdgcn_target "amdgcn-amd-amdhsa--gfx950"
	.amdhsa_code_object_version 6
	.protected	bluestein_single_fwd_len1734_dim1_sp_op_CI_CI ; -- Begin function bluestein_single_fwd_len1734_dim1_sp_op_CI_CI
	.globl	bluestein_single_fwd_len1734_dim1_sp_op_CI_CI
	.p2align	8
	.type	bluestein_single_fwd_len1734_dim1_sp_op_CI_CI,@function
bluestein_single_fwd_len1734_dim1_sp_op_CI_CI: ; @bluestein_single_fwd_len1734_dim1_sp_op_CI_CI
; %bb.0:
	s_load_dwordx4 s[4:7], s[0:1], 0x28
	v_mul_u32_u24_e32 v1, 0x283, v0
	v_add_u32_sdwa v8, s2, v1 dst_sel:DWORD dst_unused:UNUSED_PAD src0_sel:DWORD src1_sel:WORD_1
	v_mov_b32_e32 v9, 0
	s_waitcnt lgkmcnt(0)
	v_cmp_gt_u64_e32 vcc, s[4:5], v[8:9]
	s_and_saveexec_b64 s[2:3], vcc
	s_cbranch_execz .LBB0_10
; %bb.1:
	s_load_dwordx4 s[16:19], s[0:1], 0x18
	s_load_dwordx4 s[8:11], s[0:1], 0x0
	s_movk_i32 s2, 0x66
	v_mul_lo_u16_sdwa v1, v1, s2 dst_sel:DWORD dst_unused:UNUSED_PAD src0_sel:WORD_1 src1_sel:DWORD
	v_sub_u16_e32 v10, v0, v1
	s_waitcnt lgkmcnt(0)
	s_load_dwordx4 s[12:15], s[16:17], 0x0
	v_mov_b32_e32 v2, s6
	v_mov_b32_e32 v3, s7
	;; [unrolled: 1-line block ×3, first 2 shown]
	v_lshlrev_b32_e32 v80, 3, v10
	s_waitcnt lgkmcnt(0)
	v_mad_u64_u32 v[0:1], s[2:3], s14, v8, 0
	v_mov_b32_e32 v4, v1
	v_mad_u64_u32 v[4:5], s[2:3], s15, v8, v[4:5]
	v_mov_b32_e32 v1, v4
	v_mad_u64_u32 v[4:5], s[2:3], s12, v10, 0
	v_mov_b32_e32 v6, v5
	v_mad_u64_u32 v[6:7], s[2:3], s13, v10, v[6:7]
	v_mov_b32_e32 v5, v6
	v_lshl_add_u64 v[0:1], v[0:1], 3, v[2:3]
	v_lshl_add_u64 v[2:3], v[4:5], 3, v[0:1]
	global_load_dwordx2 v[0:1], v[2:3], off
	v_mad_u64_u32 v[2:3], s[2:3], s12, v38, v[2:3]
	s_mul_i32 s2, s13, 0x330
	s_nop 0
	v_add_u32_e32 v3, s2, v3
	v_mad_u64_u32 v[6:7], s[14:15], s12, v38, v[2:3]
	v_add_u32_e32 v7, s2, v7
	v_mov_b64_e32 v[4:5], v[8:9]
	v_mad_u64_u32 v[8:9], s[14:15], s12, v38, v[6:7]
	v_add_u32_e32 v9, s2, v9
	v_mov_b32_e32 v78, v10
	v_mad_u64_u32 v[10:11], s[14:15], s12, v38, v[8:9]
	v_add_u32_e32 v11, s2, v11
	s_load_dwordx4 s[4:7], s[18:19], 0x0
	global_load_dwordx2 v[70:71], v80, s[8:9]
	global_load_dwordx2 v[68:69], v80, s[8:9] offset:816
	global_load_dwordx2 v[64:65], v80, s[8:9] offset:1632
	;; [unrolled: 1-line block ×3, first 2 shown]
	global_load_dwordx2 v[12:13], v[2:3], off
	global_load_dwordx2 v[14:15], v[6:7], off
	;; [unrolled: 1-line block ×4, first 2 shown]
	v_mad_u64_u32 v[2:3], s[14:15], s12, v38, v[10:11]
	v_add_u32_e32 v3, s2, v3
	global_load_dwordx2 v[6:7], v[2:3], off
	global_load_dwordx2 v[60:61], v80, s[8:9] offset:3264
	global_load_dwordx2 v[56:57], v80, s[8:9] offset:4080
	v_mad_u64_u32 v[2:3], s[14:15], s12, v38, v[2:3]
	v_add_u32_e32 v3, s2, v3
	global_load_dwordx2 v[8:9], v[2:3], off
	v_mad_u64_u32 v[2:3], s[14:15], s12, v38, v[2:3]
	v_add_u32_e32 v3, s2, v3
	v_mov_b32_e32 v81, v5
	global_load_dwordx2 v[20:21], v[2:3], off
	v_mad_u64_u32 v[2:3], s[14:15], s12, v38, v[2:3]
	v_accvgpr_write_b32 a20, v4
	v_lshl_add_u64 v[4:5], s[8:9], 0, v[80:81]
	s_movk_i32 s33, 0x1000
	v_add_u32_e32 v3, s2, v3
	v_add_co_u32_e32 v10, vcc, s33, v4
	global_load_dwordx2 v[22:23], v[2:3], off
	v_mad_u64_u32 v[2:3], s[14:15], s12, v38, v[2:3]
	v_addc_co_u32_e32 v11, vcc, 0, v5, vcc
	v_add_u32_e32 v3, s2, v3
	global_load_dwordx2 v[66:67], v[10:11], off offset:800
	global_load_dwordx2 v[24:25], v[2:3], off
	global_load_dwordx2 v[62:63], v[10:11], off offset:1616
	global_load_dwordx2 v[54:55], v[10:11], off offset:2432
	global_load_dwordx2 v[48:49], v[10:11], off offset:3248
	v_mad_u64_u32 v[2:3], s[14:15], s12, v38, v[2:3]
	v_add_u32_e32 v3, s2, v3
	global_load_dwordx2 v[26:27], v[2:3], off
	v_mad_u64_u32 v[2:3], s[14:15], s12, v38, v[2:3]
	v_add_u32_e32 v3, s2, v3
	global_load_dwordx2 v[28:29], v[2:3], off
	s_movk_i32 s3, 0x2000
	v_mad_u64_u32 v[2:3], s[14:15], s12, v38, v[2:3]
	v_add_co_u32_e32 v30, vcc, s3, v4
	v_add_u32_e32 v3, s2, v3
	s_nop 0
	v_addc_co_u32_e32 v31, vcc, 0, v5, vcc
	global_load_dwordx2 v[50:51], v[10:11], off offset:4064
	s_nop 0
	global_load_dwordx2 v[10:11], v[2:3], off
	global_load_dwordx2 v[52:53], v[30:31], off offset:784
	v_mad_u64_u32 v[2:3], s[14:15], s12, v38, v[2:3]
	v_add_u32_e32 v3, s2, v3
	global_load_dwordx2 v[32:33], v[2:3], off
	global_load_dwordx2 v[46:47], v[30:31], off offset:1600
	global_load_dwordx2 v[42:43], v[30:31], off offset:2416
	v_mad_u64_u32 v[2:3], s[14:15], s12, v38, v[2:3]
	v_add_u32_e32 v3, s2, v3
	global_load_dwordx2 v[34:35], v[2:3], off
	v_mad_u64_u32 v[2:3], s[14:15], s12, v38, v[2:3]
	v_add_u32_e32 v3, s2, v3
	global_load_dwordx2 v[36:37], v[2:3], off
	global_load_dwordx2 v[44:45], v[30:31], off offset:3232
	global_load_dwordx2 v[40:41], v[30:31], off offset:4048
	v_mad_u64_u32 v[2:3], s[12:13], s12, v38, v[2:3]
	v_add_u32_e32 v3, s2, v3
	s_movk_i32 s2, 0x3000
	v_add_co_u32_e32 v4, vcc, s2, v4
	global_load_dwordx2 v[2:3], v[2:3], off
	s_nop 0
	v_addc_co_u32_e32 v5, vcc, 0, v5, vcc
	global_load_dwordx2 v[30:31], v[4:5], off offset:768
	v_add_u32_e32 v81, 0x2400, v80
	s_mov_b32 s2, 0xbeb8f4ab
	s_mov_b32 s3, 0x3f6eb680
	s_mov_b32 s46, s3
	s_mov_b32 s47, s2
	s_mov_b32 s22, 0xbf2c7751
	s_waitcnt vmcnt(32)
	v_mul_f32_e32 v4, v1, v71
	v_fmac_f32_e32 v4, v0, v70
	v_mul_f32_e32 v0, v0, v71
	v_fma_f32 v5, v1, v70, -v0
	s_waitcnt vmcnt(28)
	v_mul_f32_e32 v0, v13, v69
	v_mul_f32_e32 v1, v12, v69
	v_fmac_f32_e32 v0, v12, v68
	v_fma_f32 v1, v13, v68, -v1
	ds_write2_b64 v80, v[4:5], v[0:1] offset1:102
	s_waitcnt vmcnt(27)
	v_mul_f32_e32 v0, v15, v65
	v_mul_f32_e32 v1, v14, v65
	s_waitcnt vmcnt(26)
	v_mul_f32_e32 v4, v17, v59
	v_mul_f32_e32 v5, v16, v59
	v_fmac_f32_e32 v0, v14, v64
	v_fma_f32 v1, v15, v64, -v1
	v_fmac_f32_e32 v4, v16, v58
	v_fma_f32 v5, v17, v58, -v5
	v_add_u32_e32 v12, 0x400, v80
	ds_write2_b64 v12, v[0:1], v[4:5] offset0:76 offset1:178
	s_waitcnt vmcnt(23)
	v_mul_f32_e32 v0, v19, v61
	v_mul_f32_e32 v1, v18, v61
	s_waitcnt vmcnt(22)
	v_mul_f32_e32 v4, v7, v57
	v_mul_f32_e32 v5, v6, v57
	v_fmac_f32_e32 v0, v18, v60
	v_fma_f32 v1, v19, v60, -v1
	v_fmac_f32_e32 v4, v6, v56
	v_fma_f32 v5, v7, v56, -v5
	v_add_u32_e32 v6, 0x800, v80
	ds_write2_b64 v6, v[0:1], v[4:5] offset0:152 offset1:254
	v_mov_b32_e32 v38, v6
	v_add_u32_e32 v6, 0x1000, v80
	s_waitcnt vmcnt(16)
	v_mul_f32_e32 v4, v21, v63
	v_mul_f32_e32 v0, v9, v67
	;; [unrolled: 1-line block ×4, first 2 shown]
	v_fmac_f32_e32 v0, v8, v66
	v_fma_f32 v1, v9, v66, -v1
	v_fmac_f32_e32 v4, v20, v62
	v_fma_f32 v5, v21, v62, -v5
	ds_write2_b64 v6, v[0:1], v[4:5] offset0:100 offset1:202
	s_waitcnt vmcnt(15)
	v_mul_f32_e32 v0, v23, v55
	v_mul_f32_e32 v1, v22, v55
	s_waitcnt vmcnt(14)
	v_mul_f32_e32 v4, v25, v49
	v_mul_f32_e32 v5, v24, v49
	v_mov_b32_e32 v8, v6
	v_fmac_f32_e32 v0, v22, v54
	v_fma_f32 v1, v23, v54, -v1
	v_fmac_f32_e32 v4, v24, v48
	v_fma_f32 v5, v25, v48, -v5
	v_add_u32_e32 v6, 0x1800, v80
	ds_write2_b64 v6, v[0:1], v[4:5] offset0:48 offset1:150
	s_waitcnt vmcnt(11)
	v_mul_f32_e32 v0, v27, v51
	v_mul_f32_e32 v1, v26, v51
	s_waitcnt vmcnt(9)
	v_mul_f32_e32 v4, v29, v53
	v_mul_f32_e32 v5, v28, v53
	v_mov_b32_e32 v39, v6
	v_fmac_f32_e32 v0, v26, v50
	v_fma_f32 v1, v27, v50, -v1
	v_fmac_f32_e32 v4, v28, v52
	v_fma_f32 v5, v29, v52, -v5
	v_add_u32_e32 v6, 0x1c00, v80
	ds_write2_b64 v6, v[0:1], v[4:5] offset0:124 offset1:226
	s_waitcnt vmcnt(7)
	v_mul_f32_e32 v0, v11, v47
	v_mul_f32_e32 v1, v10, v47
	s_waitcnt vmcnt(6)
	v_mul_f32_e32 v4, v33, v43
	v_mul_f32_e32 v5, v32, v43
	v_fmac_f32_e32 v0, v10, v46
	v_fma_f32 v1, v11, v46, -v1
	v_fmac_f32_e32 v4, v32, v42
	v_fma_f32 v5, v33, v42, -v5
	ds_write2_b64 v81, v[0:1], v[4:5] offset0:72 offset1:174
	s_waitcnt vmcnt(3)
	v_mul_f32_e32 v0, v35, v45
	v_mul_f32_e32 v1, v34, v45
	s_waitcnt vmcnt(2)
	v_mul_f32_e32 v4, v37, v41
	v_mul_f32_e32 v5, v36, v41
	v_mov_b32_e32 v16, v12
	v_mov_b32_e32 v12, v6
	v_fmac_f32_e32 v0, v34, v44
	v_fma_f32 v1, v35, v44, -v1
	v_fmac_f32_e32 v4, v36, v40
	v_fma_f32 v5, v37, v40, -v5
	v_add_u32_e32 v6, 0x2800, v80
	ds_write2_b64 v6, v[0:1], v[4:5] offset0:148 offset1:250
	s_waitcnt vmcnt(0)
	v_mul_f32_e32 v0, v3, v31
	v_mul_f32_e32 v1, v2, v31
	v_accvgpr_write_b32 a12, v50
	v_accvgpr_write_b32 a14, v52
	v_fmac_f32_e32 v0, v2, v30
	v_fma_f32 v1, v3, v30, -v1
	v_accvgpr_write_b32 a13, v51
	v_accvgpr_write_b32 a15, v53
	v_mov_b32_e32 v28, v6
	ds_write_b64 v80, v[0:1] offset:13056
	s_waitcnt lgkmcnt(0)
	s_barrier
	ds_read2_b64 v[4:7], v8 offset0:100 offset1:202
	v_accvgpr_write_b32 a21, v8
	ds_read2_b64 v[8:11], v12 offset0:124 offset1:226
	v_accvgpr_write_b32 a38, v12
	ds_read2_b64 v[50:53], v80 offset1:102
	ds_read2_b64 v[12:15], v16 offset0:76 offset1:178
	v_accvgpr_write_b32 a39, v16
	ds_read2_b64 v[16:19], v38 offset0:152 offset1:254
	v_accvgpr_write_b32 a24, v60
	s_waitcnt lgkmcnt(2)
	v_pk_add_f32 v[20:21], v[50:51], v[52:53]
	v_accvgpr_write_b32 a25, v61
	s_waitcnt lgkmcnt(1)
	v_pk_add_f32 v[20:21], v[20:21], v[12:13]
	v_pk_add_f32 v[60:61], v[10:11], v[4:5]
	;; [unrolled: 1-line block ×3, first 2 shown]
	v_pk_add_f32 v[2:3], v[4:5], v[10:11] neg_lo:[0,1] neg_hi:[0,1]
	s_waitcnt lgkmcnt(0)
	v_pk_add_f32 v[24:25], v[20:21], v[16:17]
	ds_read2_b64 v[20:23], v39 offset0:48 offset1:150
	v_pk_add_f32 v[24:25], v[24:25], v[18:19]
	v_accvgpr_write_b32 a2, v40
	v_pk_add_f32 v[4:5], v[24:25], v[4:5]
	v_accvgpr_write_b32 a3, v41
	v_pk_add_f32 v[24:25], v[4:5], v[6:7]
	v_pk_add_f32 v[74:75], v[8:9], v[6:7]
	s_waitcnt lgkmcnt(0)
	v_pk_add_f32 v[24:25], v[24:25], v[20:21]
	v_pk_add_f32 v[40:41], v[6:7], v[8:9] neg_lo:[0,1] neg_hi:[0,1]
	v_pk_add_f32 v[24:25], v[24:25], v[22:23]
	ds_read2_b64 v[4:7], v81 offset0:72 offset1:174
	v_pk_add_f32 v[8:9], v[24:25], v[8:9]
	v_accvgpr_write_b32 a32, v68
	v_pk_add_f32 v[24:25], v[8:9], v[10:11]
	ds_read2_b64 v[8:11], v28 offset0:148 offset1:250
	v_accvgpr_write_b32 a33, v69
	v_accvgpr_write_b32 a28, v64
	s_waitcnt lgkmcnt(1)
	v_pk_add_f32 v[68:69], v[4:5], v[18:19]
	v_pk_add_f32 v[36:37], v[18:19], v[4:5] neg_lo:[0,1] neg_hi:[0,1]
	v_pk_add_f32 v[4:5], v[24:25], v[4:5]
	v_accvgpr_write_b32 a29, v65
	v_pk_add_f32 v[64:65], v[6:7], v[16:17]
	v_pk_add_f32 v[26:27], v[16:17], v[6:7] neg_lo:[0,1] neg_hi:[0,1]
	v_pk_add_f32 v[4:5], v[4:5], v[6:7]
	s_waitcnt lgkmcnt(0)
	v_pk_add_f32 v[34:35], v[10:11], v[12:13]
	v_pk_add_f32 v[6:7], v[12:13], v[10:11] neg_lo:[0,1] neg_hi:[0,1]
	ds_read_b64 v[12:13], v80 offset:13056
	v_pk_add_f32 v[4:5], v[4:5], v[8:9]
	v_accvgpr_write_b32 a16, v54
	v_pk_add_f32 v[4:5], v[4:5], v[10:11]
	v_accvgpr_write_b32 a17, v55
	s_waitcnt lgkmcnt(0)
	v_pk_add_f32 v[54:55], v[4:5], v[12:13]
	v_pk_add_f32 v[16:17], v[12:13], v[52:53]
	v_pk_add_f32 v[4:5], v[52:53], v[12:13] neg_lo:[0,1] neg_hi:[0,1]
	v_mov_b32_e32 v139, v17
	v_mov_b32_e32 v17, v4
	;; [unrolled: 1-line block ×3, first 2 shown]
	v_pk_mul_f32 v[4:5], v[16:17], s[46:47]
	s_mov_b32 s23, 0x3f3d2fb0
	s_mov_b32 s28, 0xbf65296c
	v_pk_add_f32 v[120:121], v[8:9], v[14:15]
	v_pk_add_f32 v[0:1], v[14:15], v[8:9] neg_lo:[0,1] neg_hi:[0,1]
	v_mov_b32_e32 v133, v35
	v_mov_b32_e32 v35, v6
	v_accvgpr_write_b32 a43, v5
	s_mov_b32 s54, s23
	s_mov_b32 s55, s22
	;; [unrolled: 1-line block ×3, first 2 shown]
	v_mov_b32_e32 v132, v7
	v_pk_fma_f32 v[10:11], v[138:139], s[2:3], v[4:5] neg_lo:[1,0,0] neg_hi:[1,0,0]
	v_pk_fma_f32 v[118:119], v[138:139], s[2:3], v[4:5]
	v_accvgpr_write_b32 a42, v4
	v_pk_mul_f32 v[4:5], v[34:35], s[54:55]
	v_mov_b32_e32 v29, v121
	v_mov_b32_e32 v121, v0
	s_mov_b32 s40, s29
	s_mov_b32 s41, s28
	v_accvgpr_write_b32 a8, v46
	v_accvgpr_write_b32 a40, v28
	v_mov_b32_e32 v11, v119
	v_pk_fma_f32 v[18:19], v[132:133], s[22:23], v[4:5] neg_lo:[1,0,0] neg_hi:[1,0,0]
	v_pk_fma_f32 v[102:103], v[132:133], s[22:23], v[4:5]
	v_mov_b32_e32 v28, v1
	v_pk_mul_f32 v[0:1], v[120:121], s[40:41]
	v_accvgpr_write_b32 a9, v47
	v_pk_add_f32 v[72:73], v[22:23], v[20:21]
	v_pk_add_f32 v[46:47], v[20:21], v[22:23] neg_lo:[0,1] neg_hi:[0,1]
	v_pk_add_f32 v[14:15], v[50:51], v[10:11]
	v_mov_b32_e32 v19, v103
	v_pk_fma_f32 v[22:23], v[28:29], s[28:29], v[0:1] neg_lo:[1,0,0] neg_hi:[1,0,0]
	v_pk_fma_f32 v[96:97], v[28:29], s[28:29], v[0:1]
	s_mov_b32 s16, 0xbf7ee86f
	v_accvgpr_write_b32 a0, v30
	v_pk_add_f32 v[20:21], v[18:19], v[14:15]
	v_mov_b32_e32 v23, v97
	s_mov_b32 s17, 0x3dbcf732
	v_accvgpr_write_b32 a1, v31
	v_accvgpr_write_b32 a47, v1
	v_pk_add_f32 v[30:31], v[22:23], v[20:21]
	v_mov_b32_e32 v23, v65
	v_mov_b32_e32 v65, v26
	s_mov_b32 s52, s17
	s_mov_b32 s53, s16
	v_accvgpr_write_b32 a46, v0
	v_mov_b32_e32 v22, v27
	v_pk_mul_f32 v[0:1], v[64:65], s[52:53]
	s_mov_b32 s14, 0xbf763a35
	v_pk_fma_f32 v[26:27], v[22:23], s[16:17], v[0:1] neg_lo:[1,0,0] neg_hi:[1,0,0]
	v_pk_fma_f32 v[92:93], v[22:23], s[16:17], v[0:1]
	s_mov_b32 s15, 0xbe8c1d8e
	v_mov_b32_e32 v27, v93
	v_accvgpr_write_b32 a49, v1
	v_pk_add_f32 v[32:33], v[26:27], v[30:31]
	v_mov_b32_e32 v27, v69
	v_mov_b32_e32 v69, v36
	s_mov_b32 s44, s15
	s_mov_b32 s45, s14
	v_accvgpr_write_b32 a48, v0
	v_mov_b32_e32 v26, v37
	v_pk_mul_f32 v[0:1], v[68:69], s[44:45]
	s_mov_b32 s12, 0xbf4c4adb
	v_pk_fma_f32 v[36:37], v[26:27], s[14:15], v[0:1] neg_lo:[1,0,0] neg_hi:[1,0,0]
	v_pk_fma_f32 v[90:91], v[26:27], s[14:15], v[0:1]
	s_mov_b32 s13, 0xbf1a4643
	v_mov_b32_e32 v37, v91
	v_accvgpr_write_b32 a36, v38
	v_accvgpr_write_b32 a37, v39
	;; [unrolled: 1-line block ×3, first 2 shown]
	v_pk_add_f32 v[38:39], v[36:37], v[32:33]
	v_mov_b32_e32 v33, v61
	v_mov_b32_e32 v61, v2
	s_mov_b32 s48, s13
	s_mov_b32 s49, s12
	v_accvgpr_write_b32 a4, v42
	v_accvgpr_write_b32 a50, v0
	v_mov_b32_e32 v32, v3
	v_pk_mul_f32 v[0:1], v[60:61], s[48:49]
	v_accvgpr_write_b32 a5, v43
	v_pk_fma_f32 v[42:43], v[32:33], s[12:13], v[0:1] neg_lo:[1,0,0] neg_hi:[1,0,0]
	v_pk_fma_f32 v[76:77], v[32:33], s[12:13], v[0:1]
	s_mov_b32 s20, 0xbf06c442
	v_accvgpr_write_b32 a6, v44
	v_mov_b32_e32 v43, v77
	s_mov_b32 s21, 0xbf59a7d5
	v_accvgpr_write_b32 a7, v45
	v_accvgpr_write_b32 a53, v1
	v_pk_add_f32 v[44:45], v[42:43], v[38:39]
	v_mov_b32_e32 v39, v75
	v_mov_b32_e32 v75, v40
	s_mov_b32 s50, s21
	s_mov_b32 s51, s20
	v_accvgpr_write_b32 a10, v48
	v_accvgpr_write_b32 a52, v0
	v_mov_b32_e32 v38, v41
	v_pk_mul_f32 v[0:1], v[74:75], s[50:51]
	v_accvgpr_write_b32 a11, v49
	v_pk_fma_f32 v[48:49], v[38:39], s[20:21], v[0:1] neg_lo:[1,0,0] neg_hi:[1,0,0]
	v_pk_fma_f32 v[52:53], v[38:39], s[20:21], v[0:1]
	s_mov_b32 s18, 0xbe3c28d5
	v_accvgpr_write_b32 a18, v56
	v_mov_b32_e32 v49, v53
	s_mov_b32 s19, 0xbf7ba420
	v_accvgpr_write_b32 a19, v57
	v_accvgpr_write_b32 a55, v1
	v_pk_add_f32 v[56:57], v[48:49], v[44:45]
	v_mov_b32_e32 v45, v73
	v_mov_b32_e32 v73, v46
	s_mov_b32 s56, s19
	s_mov_b32 s57, s18
	v_accvgpr_write_b32 a54, v0
	v_pk_mul_f32 v[0:1], v[72:73], s[56:57]
	v_accvgpr_write_b32 a22, v58
	v_mov_b32_e32 v44, v47
	v_accvgpr_write_b32 a57, v1
	v_accvgpr_write_b32 a23, v59
	v_pk_fma_f32 v[58:59], v[44:45], s[18:19], v[0:1] neg_lo:[1,0,0] neg_hi:[1,0,0]
	v_pk_fma_f32 v[48:49], v[44:45], s[18:19], v[0:1]
	v_accvgpr_write_b32 a56, v0
	v_mul_lo_u16_e32 v0, 17, v78
	v_mov_b32_e32 v59, v49
	v_lshlrev_b32_e32 v46, 3, v0
	v_pk_mul_f32 v[0:1], v[16:17], s[54:55]
	v_accvgpr_write_b32 a26, v62
	v_pk_add_f32 v[56:57], v[58:59], v[56:57]
	v_accvgpr_write_b32 a59, v1
	v_accvgpr_write_b32 a30, v66
	;; [unrolled: 1-line block ×3, first 2 shown]
	s_barrier
	ds_write2_b64 v46, v[54:55], v[56:57] offset1:1
	v_pk_fma_f32 v[62:63], v[138:139], s[22:23], v[0:1] neg_lo:[1,0,0] neg_hi:[1,0,0]
	v_pk_fma_f32 v[54:55], v[138:139], s[22:23], v[0:1]
	v_accvgpr_write_b32 a58, v0
	v_pk_mul_f32 v[0:1], v[34:35], s[52:53]
	v_accvgpr_write_b32 a31, v67
	v_mov_b32_e32 v63, v55
	v_pk_fma_f32 v[66:67], v[132:133], s[16:17], v[0:1] neg_lo:[1,0,0] neg_hi:[1,0,0]
	v_pk_fma_f32 v[56:57], v[132:133], s[16:17], v[0:1]
	v_accvgpr_write_b32 a61, v1
	v_accvgpr_write_b32 a34, v70
	;; [unrolled: 1-line block ×3, first 2 shown]
	v_mov_b32_e32 v67, v57
	v_pk_add_f32 v[62:63], v[50:51], v[62:63]
	v_pk_mul_f32 v[0:1], v[120:121], s[48:49]
	v_accvgpr_write_b32 a35, v71
	v_pk_add_f32 v[66:67], v[66:67], v[62:63]
	v_pk_fma_f32 v[70:71], v[28:29], s[12:13], v[0:1] neg_lo:[1,0,0] neg_hi:[1,0,0]
	v_pk_fma_f32 v[62:63], v[28:29], s[12:13], v[0:1]
	v_accvgpr_write_b32 a63, v1
	v_accvgpr_write_b32 a62, v0
	v_mov_b32_e32 v71, v63
	v_pk_mul_f32 v[0:1], v[64:65], s[56:57]
	s_mov_b32 s36, 0x3f06c442
	v_mov_b32_e32 v47, v78
	v_pk_add_f32 v[70:71], v[70:71], v[66:67]
	v_pk_fma_f32 v[78:79], v[22:23], s[18:19], v[0:1] neg_lo:[1,0,0] neg_hi:[1,0,0]
	v_pk_fma_f32 v[66:67], v[22:23], s[18:19], v[0:1]
	v_accvgpr_write_b32 a65, v1
	s_mov_b32 s66, s21
	s_mov_b32 s67, s36
	v_accvgpr_write_b32 a64, v0
	v_mov_b32_e32 v79, v67
	s_mov_b32 s37, s21
	v_pk_mul_f32 v[0:1], v[68:69], s[66:67]
	s_mov_b32 s34, 0x3f763a35
	v_pk_add_f32 v[78:79], v[78:79], v[70:71]
	v_pk_fma_f32 v[82:83], v[26:27], s[36:37], v[0:1] neg_lo:[1,0,0] neg_hi:[1,0,0]
	v_pk_fma_f32 v[70:71], v[26:27], s[36:37], v[0:1]
	s_mov_b32 s64, s15
	s_mov_b32 s65, s34
	v_mov_b32_e32 v83, v71
	s_mov_b32 s35, s15
	v_pk_mul_f32 v[228:229], v[60:61], s[64:65]
	s_mov_b32 s26, 0x3f65296c
	v_pk_add_f32 v[82:83], v[82:83], v[78:79]
	v_pk_fma_f32 v[84:85], v[32:33], s[34:35], v[228:229] neg_lo:[1,0,0] neg_hi:[1,0,0]
	v_pk_fma_f32 v[78:79], v[32:33], s[34:35], v[228:229]
	s_mov_b32 s58, s29
	s_mov_b32 s59, s26
	;; [unrolled: 9-line block ×3, first 2 shown]
	v_mov_b32_e32 v85, v123
	s_mov_b32 s25, s3
	v_pk_mul_f32 v[224:225], v[72:73], s[60:61]
	v_pk_add_f32 v[82:83], v[84:85], v[82:83]
	v_pk_fma_f32 v[84:85], v[44:45], s[24:25], v[224:225] neg_lo:[1,0,0] neg_hi:[1,0,0]
	v_pk_fma_f32 v[126:127], v[44:45], s[24:25], v[224:225]
	v_pk_mul_f32 v[140:141], v[16:17], s[40:41]
	v_mov_b32_e32 v85, v127
	v_pk_add_f32 v[82:83], v[84:85], v[82:83]
	v_pk_fma_f32 v[84:85], v[138:139], s[28:29], v[140:141] neg_lo:[1,0,0] neg_hi:[1,0,0]
	v_pk_fma_f32 v[134:135], v[138:139], s[28:29], v[140:141]
	v_pk_mul_f32 v[142:143], v[34:35], s[48:49]
	s_mov_b32 s42, 0x3e3c28d5
	v_mov_b32_e32 v85, v135
	v_pk_fma_f32 v[86:87], v[132:133], s[12:13], v[142:143] neg_lo:[1,0,0] neg_hi:[1,0,0]
	v_pk_fma_f32 v[136:137], v[132:133], s[12:13], v[142:143]
	s_mov_b32 s30, s19
	s_mov_b32 s31, s42
	v_mov_b32_e32 v87, v137
	v_pk_add_f32 v[84:85], v[50:51], v[84:85]
	s_mov_b32 s43, s19
	v_pk_mul_f32 v[152:153], v[120:121], s[30:31]
	v_pk_add_f32 v[84:85], v[86:87], v[84:85]
	v_pk_fma_f32 v[86:87], v[28:29], s[42:43], v[152:153] neg_lo:[1,0,0] neg_hi:[1,0,0]
	v_pk_fma_f32 v[144:145], v[28:29], s[42:43], v[152:153]
	v_pk_mul_f32 v[154:155], v[64:65], s[64:65]
	v_mov_b32_e32 v87, v145
	s_mov_b32 s30, 0x3f2c7751
	v_pk_add_f32 v[84:85], v[86:87], v[84:85]
	v_pk_fma_f32 v[86:87], v[22:23], s[34:35], v[154:155] neg_lo:[1,0,0] neg_hi:[1,0,0]
	v_pk_fma_f32 v[146:147], v[22:23], s[34:35], v[154:155]
	s_mov_b32 s62, s23
	s_mov_b32 s63, s30
	v_mov_b32_e32 v87, v147
	s_mov_b32 s31, s23
	v_pk_mul_f32 v[160:161], v[68:69], s[62:63]
	v_pk_add_f32 v[84:85], v[86:87], v[84:85]
	v_pk_fma_f32 v[86:87], v[26:27], s[30:31], v[160:161] neg_lo:[1,0,0] neg_hi:[1,0,0]
	v_pk_fma_f32 v[148:149], v[26:27], s[30:31], v[160:161]
	v_pk_mul_f32 v[162:163], v[60:61], s[46:47]
	v_mov_b32_e32 v87, v149
	v_pk_add_f32 v[84:85], v[86:87], v[84:85]
	v_pk_fma_f32 v[86:87], v[32:33], s[2:3], v[162:163] neg_lo:[1,0,0] neg_hi:[1,0,0]
	v_pk_fma_f32 v[150:151], v[32:33], s[2:3], v[162:163]
	v_pk_mul_f32 v[164:165], v[74:75], s[52:53]
	v_mov_b32_e32 v87, v151
	;; [unrolled: 5-line block ×4, first 2 shown]
	v_pk_add_f32 v[84:85], v[86:87], v[84:85]
	ds_write2_b64 v46, v[82:83], v[84:85] offset0:2 offset1:3
	v_pk_fma_f32 v[82:83], v[138:139], s[16:17], v[172:173] neg_lo:[1,0,0] neg_hi:[1,0,0]
	v_pk_fma_f32 v[168:169], v[138:139], s[16:17], v[172:173]
	v_pk_mul_f32 v[174:175], v[34:35], s[56:57]
	v_mov_b32_e32 v83, v169
	v_pk_fma_f32 v[84:85], v[132:133], s[18:19], v[174:175] neg_lo:[1,0,0] neg_hi:[1,0,0]
	v_pk_fma_f32 v[170:171], v[132:133], s[18:19], v[174:175]
	v_pk_add_f32 v[82:83], v[50:51], v[82:83]
	v_mov_b32_e32 v85, v171
	v_pk_mul_f32 v[184:185], v[120:121], s[64:65]
	v_pk_add_f32 v[82:83], v[84:85], v[82:83]
	v_pk_fma_f32 v[84:85], v[28:29], s[34:35], v[184:185] neg_lo:[1,0,0] neg_hi:[1,0,0]
	v_pk_fma_f32 v[176:177], v[28:29], s[34:35], v[184:185]
	v_pk_mul_f32 v[186:187], v[64:65], s[60:61]
	v_mov_b32_e32 v85, v177
	v_pk_add_f32 v[82:83], v[84:85], v[82:83]
	v_pk_fma_f32 v[84:85], v[22:23], s[24:25], v[186:187] neg_lo:[1,0,0] neg_hi:[1,0,0]
	v_pk_fma_f32 v[178:179], v[22:23], s[24:25], v[186:187]
	v_pk_mul_f32 v[190:191], v[68:69], s[40:41]
	v_mov_b32_e32 v85, v179
	;; [unrolled: 5-line block ×3, first 2 shown]
	s_mov_b32 s38, 0x3f4c4adb
	v_pk_add_f32 v[82:83], v[84:85], v[82:83]
	v_pk_fma_f32 v[84:85], v[32:33], s[20:21], v[192:193] neg_lo:[1,0,0] neg_hi:[1,0,0]
	v_pk_fma_f32 v[182:183], v[32:33], s[20:21], v[192:193]
	s_mov_b32 s68, s13
	s_mov_b32 s69, s38
	v_mov_b32_e32 v85, v183
	s_mov_b32 s39, s13
	v_pk_mul_f32 v[196:197], v[74:75], s[68:69]
	v_pk_add_f32 v[82:83], v[84:85], v[82:83]
	v_pk_fma_f32 v[84:85], v[38:39], s[38:39], v[196:197] neg_lo:[1,0,0] neg_hi:[1,0,0]
	v_pk_fma_f32 v[188:189], v[38:39], s[38:39], v[196:197]
	v_pk_mul_f32 v[198:199], v[72:73], s[62:63]
	v_mov_b32_e32 v85, v189
	v_pk_add_f32 v[82:83], v[84:85], v[82:83]
	v_pk_fma_f32 v[84:85], v[44:45], s[30:31], v[198:199] neg_lo:[1,0,0] neg_hi:[1,0,0]
	v_pk_fma_f32 v[194:195], v[44:45], s[30:31], v[198:199]
	v_pk_mul_f32 v[204:205], v[16:17], s[44:45]
	v_mov_b32_e32 v85, v195
	;; [unrolled: 5-line block ×3, first 2 shown]
	v_pk_fma_f32 v[84:85], v[132:133], s[36:37], v[130:131] neg_lo:[1,0,0] neg_hi:[1,0,0]
	v_pk_fma_f32 v[202:203], v[132:133], s[36:37], v[130:131]
	v_pk_add_f32 v[82:83], v[50:51], v[82:83]
	v_mov_b32_e32 v85, v203
	v_pk_mul_f32 v[128:129], v[120:121], s[62:63]
	v_pk_add_f32 v[84:85], v[84:85], v[82:83]
	v_pk_fma_f32 v[86:87], v[28:29], s[30:31], v[128:129] neg_lo:[1,0,0] neg_hi:[1,0,0]
	v_pk_fma_f32 v[82:83], v[28:29], s[30:31], v[128:129]
	v_pk_mul_f32 v[124:125], v[64:65], s[40:41]
	v_mov_b32_e32 v87, v83
	v_pk_add_f32 v[86:87], v[86:87], v[84:85]
	v_pk_fma_f32 v[88:89], v[22:23], s[28:29], v[124:125] neg_lo:[1,0,0] neg_hi:[1,0,0]
	v_pk_fma_f32 v[84:85], v[22:23], s[28:29], v[124:125]
	v_pk_mul_f32 v[58:59], v[68:69], s[56:57]
	v_mov_b32_e32 v89, v85
	s_mov_b32 s40, 0x3f7ee86f
	v_pk_add_f32 v[88:89], v[88:89], v[86:87]
	v_pk_fma_f32 v[94:95], v[26:27], s[18:19], v[58:59] neg_lo:[1,0,0] neg_hi:[1,0,0]
	v_pk_fma_f32 v[86:87], v[26:27], s[18:19], v[58:59]
	s_mov_b32 s66, s17
	s_mov_b32 s67, s40
	v_mov_b32_e32 v95, v87
	s_mov_b32 s41, s17
	v_pk_mul_f32 v[100:101], v[60:61], s[66:67]
	v_pk_add_f32 v[94:95], v[94:95], v[88:89]
	v_pk_fma_f32 v[98:99], v[32:33], s[40:41], v[100:101] neg_lo:[1,0,0] neg_hi:[1,0,0]
	v_pk_fma_f32 v[88:89], v[32:33], s[40:41], v[100:101]
	v_pk_mul_f32 v[104:105], v[74:75], s[46:47]
	v_mov_b32_e32 v99, v89
	v_pk_add_f32 v[98:99], v[98:99], v[94:95]
	v_pk_fma_f32 v[106:107], v[38:39], s[2:3], v[104:105] neg_lo:[1,0,0] neg_hi:[1,0,0]
	v_pk_fma_f32 v[94:95], v[38:39], s[2:3], v[104:105]
	v_pk_mul_f32 v[114:115], v[34:35], s[64:65]
	v_mov_b32_e32 v107, v95
	v_pk_add_f32 v[110:111], v[106:107], v[98:99]
	v_pk_mul_f32 v[106:107], v[72:73], s[48:49]
	v_pk_fma_f32 v[206:207], v[132:133], s[34:35], v[114:115] neg_lo:[1,0,0] neg_hi:[1,0,0]
	v_pk_fma_f32 v[112:113], v[44:45], s[12:13], v[106:107] neg_lo:[1,0,0] neg_hi:[1,0,0]
	v_pk_fma_f32 v[98:99], v[44:45], s[12:13], v[106:107]
	v_pk_mul_f32 v[214:215], v[120:121], s[46:47]
	v_mov_b32_e32 v113, v99
	v_pk_add_f32 v[110:111], v[112:113], v[110:111]
	v_pk_mul_f32 v[112:113], v[16:17], s[48:49]
	ds_write2_b64 v46, v[108:109], v[110:111] offset0:4 offset1:5
	v_pk_fma_f32 v[116:117], v[138:139], s[12:13], v[112:113] neg_lo:[1,0,0] neg_hi:[1,0,0]
	v_pk_fma_f32 v[108:109], v[138:139], s[12:13], v[112:113]
	v_pk_fma_f32 v[110:111], v[132:133], s[34:35], v[114:115]
	v_mov_b32_e32 v117, v109
	v_mov_b32_e32 v207, v111
	v_pk_add_f32 v[116:117], v[50:51], v[116:117]
	v_pk_fma_f32 v[208:209], v[28:29], s[2:3], v[214:215] neg_lo:[1,0,0] neg_hi:[1,0,0]
	v_pk_add_f32 v[206:207], v[206:207], v[116:117]
	v_pk_fma_f32 v[116:117], v[28:29], s[2:3], v[214:215]
	v_pk_mul_f32 v[216:217], v[64:65], s[50:51]
	v_mov_b32_e32 v209, v117
	v_pk_add_f32 v[208:209], v[208:209], v[206:207]
	v_pk_fma_f32 v[210:211], v[22:23], s[20:21], v[216:217] neg_lo:[1,0,0] neg_hi:[1,0,0]
	v_pk_fma_f32 v[206:207], v[22:23], s[20:21], v[216:217]
	v_pk_mul_f32 v[220:221], v[68:69], s[66:67]
	v_mov_b32_e32 v211, v207
	v_pk_add_f32 v[210:211], v[210:211], v[208:209]
	v_pk_fma_f32 v[212:213], v[26:27], s[40:41], v[220:221] neg_lo:[1,0,0] neg_hi:[1,0,0]
	;; [unrolled: 5-line block ×5, first 2 shown]
	v_pk_fma_f32 v[218:219], v[44:45], s[26:27], v[234:235]
	v_pk_mul_f32 v[242:243], v[34:35], s[58:59]
	v_mov_b32_e32 v237, v219
	v_pk_add_f32 v[232:233], v[236:237], v[232:233]
	v_pk_mul_f32 v[236:237], v[16:17], s[50:51]
	v_pk_fma_f32 v[244:245], v[132:133], s[26:27], v[242:243] neg_lo:[1,0,0] neg_hi:[1,0,0]
	v_pk_fma_f32 v[238:239], v[138:139], s[20:21], v[236:237] neg_lo:[1,0,0] neg_hi:[1,0,0]
	v_pk_fma_f32 v[240:241], v[138:139], s[20:21], v[236:237]
	v_pk_fma_f32 v[246:247], v[132:133], s[26:27], v[242:243]
	v_mov_b32_e32 v239, v241
	v_mov_b32_e32 v245, v247
	v_pk_add_f32 v[238:239], v[50:51], v[238:239]
	v_accvgpr_write_b32 a67, v1
	v_pk_add_f32 v[238:239], v[244:245], v[238:239]
	v_pk_mul_f32 v[244:245], v[120:121], s[52:53]
	v_accvgpr_write_b32 a66, v0
	v_pk_fma_f32 v[248:249], v[28:29], s[16:17], v[244:245] neg_lo:[1,0,0] neg_hi:[1,0,0]
	v_pk_fma_f32 v[250:251], v[28:29], s[16:17], v[244:245]
	v_pk_mul_f32 v[42:43], v[74:75], s[62:63]
	v_mov_b32_e32 v249, v251
	v_pk_add_f32 v[238:239], v[248:249], v[238:239]
	v_pk_mul_f32 v[248:249], v[64:65], s[68:69]
	v_pk_fma_f32 v[20:21], v[38:39], s[30:31], v[42:43]
	v_pk_fma_f32 v[252:253], v[22:23], s[38:39], v[248:249] neg_lo:[1,0,0] neg_hi:[1,0,0]
	v_pk_fma_f32 v[254:255], v[22:23], s[38:39], v[248:249]
	v_pk_mul_f32 v[40:41], v[72:73], s[44:45]
	v_mov_b32_e32 v253, v255
	v_pk_add_f32 v[238:239], v[252:253], v[238:239]
	v_pk_mul_f32 v[252:253], v[68:69], s[46:47]
	v_pk_fma_f32 v[18:19], v[44:45], s[14:15], v[40:41]
	;; [unrolled: 7-line block ×3, first 2 shown]
	v_pk_fma_f32 v[0:1], v[32:33], s[18:19], v[238:239] neg_lo:[1,0,0] neg_hi:[1,0,0]
	v_pk_fma_f32 v[24:25], v[32:33], s[18:19], v[238:239]
	v_pk_mul_f32 v[34:35], v[34:35], s[60:61]
	v_mov_b32_e32 v1, v25
	v_pk_add_f32 v[2:3], v[0:1], v[2:3]
	v_pk_fma_f32 v[0:1], v[38:39], s[30:31], v[42:43] neg_lo:[1,0,0] neg_hi:[1,0,0]
	v_pk_fma_f32 v[12:13], v[132:133], s[24:25], v[34:35]
	v_mov_b32_e32 v1, v21
	v_pk_add_f32 v[2:3], v[0:1], v[2:3]
	v_pk_fma_f32 v[0:1], v[44:45], s[14:15], v[40:41] neg_lo:[1,0,0] neg_hi:[1,0,0]
	v_pk_mul_f32 v[120:121], v[120:121], s[50:51]
	v_mov_b32_e32 v1, v19
	v_pk_add_f32 v[0:1], v[0:1], v[2:3]
	v_pk_fma_f32 v[2:3], v[138:139], s[18:19], v[36:37] neg_lo:[1,0,0] neg_hi:[1,0,0]
	ds_write2_b64 v46, v[232:233], v[0:1] offset0:6 offset1:7
	v_mov_b32_e32 v3, v17
	v_pk_fma_f32 v[232:233], v[132:133], s[24:25], v[34:35] neg_lo:[1,0,0] neg_hi:[1,0,0]
	v_pk_add_f32 v[2:3], v[50:51], v[2:3]
	v_mov_b32_e32 v233, v13
	v_pk_add_f32 v[0:1], v[232:233], v[2:3]
	v_pk_fma_f32 v[232:233], v[28:29], s[20:21], v[120:121] neg_lo:[1,0,0] neg_hi:[1,0,0]
	v_pk_fma_f32 v[10:11], v[28:29], s[20:21], v[120:121]
	v_pk_mul_f32 v[64:65], v[64:65], s[62:63]
	v_mov_b32_e32 v233, v11
	v_pk_add_f32 v[0:1], v[232:233], v[0:1]
	v_pk_fma_f32 v[232:233], v[22:23], s[30:31], v[64:65] neg_lo:[1,0,0] neg_hi:[1,0,0]
	v_pk_fma_f32 v[8:9], v[22:23], s[30:31], v[64:65]
	v_pk_mul_f32 v[68:69], v[68:69], s[48:49]
	v_mov_b32_e32 v233, v9
	v_pk_fma_f32 v[36:37], v[138:139], s[18:19], v[36:37] neg_lo:[0,0,1] neg_hi:[0,0,1]
	v_pk_add_f32 v[0:1], v[232:233], v[0:1]
	v_pk_fma_f32 v[232:233], v[26:27], s[12:13], v[68:69] neg_lo:[1,0,0] neg_hi:[1,0,0]
	v_pk_fma_f32 v[6:7], v[26:27], s[12:13], v[68:69]
	v_mov_b32_e32 v17, v37
	v_pk_fma_f32 v[34:35], v[132:133], s[24:25], v[34:35] neg_lo:[0,0,1] neg_hi:[0,0,1]
	v_accvgpr_write_b32 a45, v5
	v_mov_b32_e32 v233, v7
	v_pk_mul_f32 v[60:61], v[60:61], s[58:59]
	v_mov_b32_e32 v13, v35
	v_pk_fma_f32 v[34:35], v[28:29], s[20:21], v[120:121] neg_lo:[0,0,1] neg_hi:[0,0,1]
	v_pk_add_f32 v[16:17], v[50:51], v[16:17]
	v_accvgpr_write_b32 a44, v4
	v_pk_add_f32 v[0:1], v[232:233], v[0:1]
	v_pk_fma_f32 v[232:233], v[32:33], s[26:27], v[60:61] neg_lo:[1,0,0] neg_hi:[1,0,0]
	v_pk_fma_f32 v[4:5], v[32:33], s[26:27], v[60:61]
	v_mov_b32_e32 v11, v35
	v_pk_fma_f32 v[34:35], v[22:23], s[30:31], v[64:65] neg_lo:[0,0,1] neg_hi:[0,0,1]
	v_pk_add_f32 v[12:13], v[12:13], v[16:17]
	v_mov_b32_e32 v233, v5
	v_pk_mul_f32 v[74:75], v[74:75], s[44:45]
	v_mov_b32_e32 v9, v35
	v_pk_fma_f32 v[34:35], v[26:27], s[12:13], v[68:69] neg_lo:[0,0,1] neg_hi:[0,0,1]
	v_pk_add_f32 v[10:11], v[10:11], v[12:13]
	v_pk_add_f32 v[0:1], v[232:233], v[0:1]
	v_pk_fma_f32 v[232:233], v[38:39], s[14:15], v[74:75] neg_lo:[1,0,0] neg_hi:[1,0,0]
	v_pk_fma_f32 v[2:3], v[38:39], s[14:15], v[74:75]
	v_mov_b32_e32 v7, v35
	v_pk_fma_f32 v[34:35], v[32:33], s[26:27], v[60:61] neg_lo:[0,0,1] neg_hi:[0,0,1]
	v_pk_add_f32 v[8:9], v[8:9], v[10:11]
	v_mov_b32_e32 v233, v3
	v_pk_mul_f32 v[72:73], v[72:73], s[66:67]
	v_mov_b32_e32 v5, v35
	v_pk_fma_f32 v[34:35], v[38:39], s[14:15], v[74:75] neg_lo:[0,0,1] neg_hi:[0,0,1]
	v_pk_add_f32 v[6:7], v[6:7], v[8:9]
	v_pk_add_f32 v[14:15], v[232:233], v[0:1]
	v_pk_fma_f32 v[232:233], v[44:45], s[40:41], v[72:73] neg_lo:[1,0,0] neg_hi:[1,0,0]
	v_pk_fma_f32 v[0:1], v[44:45], s[40:41], v[72:73]
	v_mov_b32_e32 v3, v35
	v_pk_fma_f32 v[34:35], v[44:45], s[40:41], v[72:73] neg_lo:[0,0,1] neg_hi:[0,0,1]
	v_pk_add_f32 v[4:5], v[4:5], v[6:7]
	v_mov_b32_e32 v233, v1
	v_mov_b32_e32 v1, v35
	v_pk_add_f32 v[2:3], v[2:3], v[4:5]
	v_pk_add_f32 v[14:15], v[232:233], v[14:15]
	;; [unrolled: 1-line block ×3, first 2 shown]
	ds_write2_b64 v46, v[14:15], v[0:1] offset0:8 offset1:9
	v_pk_fma_f32 v[0:1], v[138:139], s[20:21], v[236:237] neg_lo:[0,0,1] neg_hi:[0,0,1]
	v_pk_fma_f32 v[2:3], v[138:139], s[12:13], v[112:113] neg_lo:[0,0,1] neg_hi:[0,0,1]
	v_mov_b32_e32 v241, v1
	v_pk_fma_f32 v[0:1], v[132:133], s[26:27], v[242:243] neg_lo:[0,0,1] neg_hi:[0,0,1]
	v_mov_b32_e32 v109, v3
	;; [unrolled: 2-line block ×15, first 2 shown]
	v_pk_add_f32 v[0:1], v[50:51], v[240:241]
	v_mov_b32_e32 v219, v3
	v_pk_add_f32 v[2:3], v[50:51], v[108:109]
	v_pk_add_f32 v[0:1], v[246:247], v[0:1]
	;; [unrolled: 1-line block ×15, first 2 shown]
	ds_write2_b64 v46, v[0:1], v[2:3] offset0:10 offset1:11
	v_pk_fma_f32 v[0:1], v[138:139], s[14:15], v[204:205] neg_lo:[0,0,1] neg_hi:[0,0,1]
	v_pk_fma_f32 v[2:3], v[138:139], s[16:17], v[172:173] neg_lo:[0,0,1] neg_hi:[0,0,1]
	v_mov_b32_e32 v201, v1
	v_pk_fma_f32 v[0:1], v[132:133], s[36:37], v[130:131] neg_lo:[0,0,1] neg_hi:[0,0,1]
	v_mov_b32_e32 v169, v3
	v_pk_fma_f32 v[2:3], v[132:133], s[18:19], v[174:175] neg_lo:[0,0,1] neg_hi:[0,0,1]
	v_mov_b32_e32 v203, v1
	v_pk_fma_f32 v[0:1], v[28:29], s[30:31], v[128:129] neg_lo:[0,0,1] neg_hi:[0,0,1]
	v_mov_b32_e32 v171, v3
	v_pk_fma_f32 v[2:3], v[28:29], s[34:35], v[184:185] neg_lo:[0,0,1] neg_hi:[0,0,1]
	v_mov_b32_e32 v83, v1
	v_pk_fma_f32 v[0:1], v[22:23], s[28:29], v[124:125] neg_lo:[0,0,1] neg_hi:[0,0,1]
	v_mov_b32_e32 v177, v3
	v_pk_fma_f32 v[2:3], v[22:23], s[24:25], v[186:187] neg_lo:[0,0,1] neg_hi:[0,0,1]
	v_mov_b32_e32 v85, v1
	v_pk_fma_f32 v[0:1], v[26:27], s[18:19], v[58:59] neg_lo:[0,0,1] neg_hi:[0,0,1]
	v_mov_b32_e32 v179, v3
	v_pk_fma_f32 v[2:3], v[26:27], s[28:29], v[190:191] neg_lo:[0,0,1] neg_hi:[0,0,1]
	v_mov_b32_e32 v87, v1
	v_pk_fma_f32 v[0:1], v[32:33], s[40:41], v[100:101] neg_lo:[0,0,1] neg_hi:[0,0,1]
	v_mov_b32_e32 v181, v3
	v_pk_fma_f32 v[2:3], v[32:33], s[20:21], v[192:193] neg_lo:[0,0,1] neg_hi:[0,0,1]
	v_mov_b32_e32 v89, v1
	v_pk_fma_f32 v[0:1], v[38:39], s[2:3], v[104:105] neg_lo:[0,0,1] neg_hi:[0,0,1]
	v_mov_b32_e32 v183, v3
	v_pk_fma_f32 v[2:3], v[38:39], s[38:39], v[196:197] neg_lo:[0,0,1] neg_hi:[0,0,1]
	v_mov_b32_e32 v95, v1
	v_pk_fma_f32 v[0:1], v[44:45], s[12:13], v[106:107] neg_lo:[0,0,1] neg_hi:[0,0,1]
	v_mov_b32_e32 v189, v3
	v_pk_fma_f32 v[2:3], v[44:45], s[30:31], v[198:199] neg_lo:[0,0,1] neg_hi:[0,0,1]
	v_mov_b32_e32 v99, v1
	v_pk_add_f32 v[0:1], v[50:51], v[200:201]
	v_mov_b32_e32 v195, v3
	v_pk_add_f32 v[2:3], v[50:51], v[168:169]
	v_pk_add_f32 v[0:1], v[202:203], v[0:1]
	;; [unrolled: 1-line block ×15, first 2 shown]
	ds_write2_b64 v46, v[0:1], v[2:3] offset0:12 offset1:13
	v_accvgpr_read_b32 v2, a58
	v_accvgpr_read_b32 v3, a59
	v_pk_fma_f32 v[2:3], v[138:139], s[22:23], v[2:3] neg_lo:[0,0,1] neg_hi:[0,0,1]
	v_pk_fma_f32 v[0:1], v[138:139], s[28:29], v[140:141] neg_lo:[0,0,1] neg_hi:[0,0,1]
	v_mov_b32_e32 v55, v3
	v_accvgpr_read_b32 v2, a60
	v_accvgpr_read_b32 v3, a61
	v_pk_fma_f32 v[2:3], v[132:133], s[16:17], v[2:3] neg_lo:[0,0,1] neg_hi:[0,0,1]
	v_mov_b32_e32 v135, v1
	v_mov_b32_e32 v57, v3
	v_accvgpr_read_b32 v2, a62
	v_accvgpr_read_b32 v3, a63
	v_pk_fma_f32 v[2:3], v[28:29], s[12:13], v[2:3] neg_lo:[0,0,1] neg_hi:[0,0,1]
	v_pk_fma_f32 v[0:1], v[132:133], s[12:13], v[142:143] neg_lo:[0,0,1] neg_hi:[0,0,1]
	v_mov_b32_e32 v63, v3
	v_accvgpr_read_b32 v2, a64
	v_accvgpr_read_b32 v3, a65
	v_pk_fma_f32 v[2:3], v[22:23], s[18:19], v[2:3] neg_lo:[0,0,1] neg_hi:[0,0,1]
	v_mov_b32_e32 v137, v1
	v_pk_fma_f32 v[0:1], v[28:29], s[42:43], v[152:153] neg_lo:[0,0,1] neg_hi:[0,0,1]
	v_mov_b32_e32 v67, v3
	v_accvgpr_read_b32 v2, a66
	v_mov_b32_e32 v145, v1
	v_pk_fma_f32 v[0:1], v[22:23], s[34:35], v[154:155] neg_lo:[0,0,1] neg_hi:[0,0,1]
	v_accvgpr_read_b32 v3, a67
	v_mov_b32_e32 v147, v1
	v_pk_fma_f32 v[0:1], v[26:27], s[30:31], v[160:161] neg_lo:[0,0,1] neg_hi:[0,0,1]
	v_pk_fma_f32 v[2:3], v[26:27], s[36:37], v[2:3] neg_lo:[0,0,1] neg_hi:[0,0,1]
	v_mov_b32_e32 v149, v1
	v_pk_fma_f32 v[0:1], v[32:33], s[2:3], v[162:163] neg_lo:[0,0,1] neg_hi:[0,0,1]
	v_mov_b32_e32 v71, v3
	;; [unrolled: 2-line block ×7, first 2 shown]
	v_pk_add_f32 v[0:1], v[50:51], v[134:135]
	v_mov_b32_e32 v127, v3
	v_pk_add_f32 v[2:3], v[50:51], v[54:55]
	v_pk_add_f32 v[0:1], v[136:137], v[0:1]
	;; [unrolled: 1-line block ×15, first 2 shown]
	ds_write2_b64 v46, v[0:1], v[2:3] offset0:14 offset1:15
	v_accvgpr_read_b32 v2, a44
	v_accvgpr_read_b32 v3, a45
	v_pk_fma_f32 v[2:3], v[132:133], s[22:23], v[2:3] neg_lo:[0,0,1] neg_hi:[0,0,1]
	v_accvgpr_read_b32 v0, a42
	v_mov_b32_e32 v103, v3
	v_accvgpr_read_b32 v2, a46
	v_accvgpr_read_b32 v3, a47
	v_pk_fma_f32 v[2:3], v[28:29], s[28:29], v[2:3] neg_lo:[0,0,1] neg_hi:[0,0,1]
	v_accvgpr_read_b32 v1, a43
	v_mov_b32_e32 v97, v3
	v_accvgpr_read_b32 v2, a48
	v_accvgpr_read_b32 v3, a49
	v_pk_fma_f32 v[2:3], v[22:23], s[16:17], v[2:3] neg_lo:[0,0,1] neg_hi:[0,0,1]
	v_pk_fma_f32 v[0:1], v[138:139], s[2:3], v[0:1] neg_lo:[0,0,1] neg_hi:[0,0,1]
	v_mov_b32_e32 v93, v3
	v_accvgpr_read_b32 v2, a50
	v_accvgpr_read_b32 v3, a51
	v_pk_fma_f32 v[2:3], v[26:27], s[14:15], v[2:3] neg_lo:[0,0,1] neg_hi:[0,0,1]
	v_mov_b32_e32 v119, v1
	v_mov_b32_e32 v91, v3
	v_accvgpr_read_b32 v2, a52
	v_accvgpr_read_b32 v3, a53
	v_pk_fma_f32 v[2:3], v[32:33], s[12:13], v[2:3] neg_lo:[0,0,1] neg_hi:[0,0,1]
	v_pk_add_f32 v[0:1], v[50:51], v[118:119]
	v_mov_b32_e32 v77, v3
	v_accvgpr_read_b32 v2, a54
	v_pk_add_f32 v[0:1], v[102:103], v[0:1]
	v_accvgpr_read_b32 v3, a55
	v_pk_add_f32 v[0:1], v[96:97], v[0:1]
	v_pk_fma_f32 v[2:3], v[38:39], s[20:21], v[2:3] neg_lo:[0,0,1] neg_hi:[0,0,1]
	v_pk_add_f32 v[0:1], v[92:93], v[0:1]
	v_mov_b32_e32 v53, v3
	v_accvgpr_read_b32 v2, a56
	v_pk_add_f32 v[0:1], v[90:91], v[0:1]
	v_accvgpr_read_b32 v3, a57
	v_pk_add_f32 v[0:1], v[76:77], v[0:1]
	v_pk_fma_f32 v[2:3], v[44:45], s[18:19], v[2:3] neg_lo:[0,0,1] neg_hi:[0,0,1]
	v_pk_add_f32 v[0:1], v[52:53], v[0:1]
	v_mov_b32_e32 v49, v3
	v_pk_add_f32 v[0:1], v[48:49], v[0:1]
	ds_write_b64 v46, v[0:1] offset:128
	s_movk_i32 s25, 0xf1
	v_mov_b32_e32 v1, v47
	v_mul_lo_u16_sdwa v0, v1, s25 dst_sel:DWORD dst_unused:UNUSED_PAD src0_sel:BYTE_0 src1_sel:DWORD
	v_lshrrev_b16_e32 v36, 12, v0
	v_mul_lo_u16_e32 v0, 17, v36
	v_sub_u16_e32 v0, v1, v0
	v_and_b32_e32 v40, 0xff, v0
	v_lshlrev_b32_e32 v0, 7, v40
	s_waitcnt lgkmcnt(0)
	s_barrier
	global_load_dwordx4 v[2:5], v0, s[10:11] offset:48
	global_load_dwordx4 v[8:11], v0, s[10:11] offset:32
	;; [unrolled: 1-line block ×4, first 2 shown]
	global_load_dwordx4 v[20:23], v0, s[10:11]
	global_load_dwordx4 v[242:245], v0, s[10:11] offset:80
	global_load_dwordx4 v[24:27], v0, s[10:11] offset:96
	;; [unrolled: 1-line block ×3, first 2 shown]
	v_accvgpr_read_b32 v6, a21
	ds_read2_b64 v[32:35], v6 offset0:100 offset1:202
	v_accvgpr_read_b32 v247, a37
	ds_read2_b64 v[42:45], v247 offset0:48 offset1:150
	v_mov_b32_e32 v7, v46
	s_mov_b32 s44, s3
	s_mov_b32 s46, s23
	s_mov_b32 s48, s29
	s_mov_b32 s50, s17
	s_mov_b32 s56, s15
	s_mov_b32 s52, s13
	s_mov_b32 s58, s21
	s_mov_b32 s54, s19
	v_accvgpr_write_b32 a21, v1
	s_waitcnt vmcnt(7)
	v_mov_b32_e32 v246, v5
	s_waitcnt vmcnt(6) lgkmcnt(1)
	v_mul_f32_e32 v0, v33, v11
	v_mul_f32_e32 v39, v32, v11
	v_fma_f32 v38, v32, v10, -v0
	v_fmac_f32_e32 v39, v33, v10
	v_pk_mul_f32 v[32:33], v[34:35], v[2:3] op_sel:[0,1]
	v_accvgpr_read_b32 v0, a39
	v_pk_fma_f32 v[46:47], v[34:35], v[2:3], v[32:33] op_sel:[0,0,1] op_sel_hi:[1,1,0] neg_lo:[0,0,1] neg_hi:[0,0,1]
	v_pk_fma_f32 v[48:49], v[34:35], v[2:3], v[32:33] op_sel:[0,0,1] op_sel_hi:[1,0,0]
	ds_read2_b64 v[32:35], v0 offset0:76 offset1:178
	s_waitcnt lgkmcnt(1)
	v_pk_mul_f32 v[50:51], v[42:43], v[246:247] op_sel_hi:[1,0]
	v_accvgpr_read_b32 v0, a38
	v_pk_fma_f32 v[52:53], v[42:43], v[4:5], v[50:51] op_sel:[0,0,1] op_sel_hi:[1,1,0] neg_lo:[0,0,1] neg_hi:[0,0,1]
	v_pk_fma_f32 v[50:51], v[42:43], v[4:5], v[50:51] op_sel:[0,0,1] op_sel_hi:[1,0,0]
	s_waitcnt vmcnt(5)
	v_pk_mul_f32 v[42:43], v[44:45], v[12:13] op_sel:[0,1]
	v_accvgpr_read_b32 v5, a36
	v_pk_fma_f32 v[54:55], v[44:45], v[12:13], v[42:43] op_sel:[0,0,1] op_sel_hi:[1,1,0] neg_lo:[0,0,1] neg_hi:[0,0,1]
	v_pk_fma_f32 v[56:57], v[44:45], v[12:13], v[42:43] op_sel:[0,0,1] op_sel_hi:[1,0,0]
	s_waitcnt vmcnt(4) lgkmcnt(0)
	v_pk_mul_f32 v[42:43], v[34:35], v[16:17] op_sel:[0,1]
	v_accvgpr_write_b32 a45, v11
	v_pk_fma_f32 v[62:63], v[34:35], v[16:17], v[42:43] op_sel:[0,0,1] op_sel_hi:[1,1,0] neg_lo:[0,0,1] neg_hi:[0,0,1]
	v_pk_fma_f32 v[58:59], v[34:35], v[16:17], v[42:43] op_sel:[0,0,1] op_sel_hi:[1,0,0]
	ds_read2_b64 v[42:45], v5 offset0:152 offset1:254
	s_waitcnt vmcnt(3)
	v_mov_b32_e32 v34, v23
	v_pk_mul_f32 v[34:35], v[32:33], v[34:35] op_sel_hi:[1,0]
	v_accvgpr_write_b32 a44, v10
	v_pk_fma_f32 v[68:69], v[32:33], v[22:23], v[34:35] op_sel:[0,0,1] op_sel_hi:[1,1,0] neg_lo:[0,0,1] neg_hi:[0,0,1]
	v_pk_fma_f32 v[60:61], v[32:33], v[22:23], v[34:35] op_sel:[0,0,1] op_sel_hi:[1,0,0]
	v_mov_b32_e32 v32, v19
	s_waitcnt lgkmcnt(0)
	v_pk_mul_f32 v[32:33], v[42:43], v[32:33] op_sel_hi:[1,0]
	v_accvgpr_write_b32 a43, v9
	v_pk_fma_f32 v[72:73], v[42:43], v[18:19], v[32:33] op_sel:[0,0,1] op_sel_hi:[1,1,0] neg_lo:[0,0,1] neg_hi:[0,0,1]
	v_pk_fma_f32 v[64:65], v[42:43], v[18:19], v[32:33] op_sel:[0,0,1] op_sel_hi:[1,0,0]
	ds_read2_b64 v[32:35], v0 offset0:124 offset1:226
	v_pk_mul_f32 v[42:43], v[44:45], v[8:9] op_sel:[0,1]
	v_accvgpr_write_b32 a42, v8
	v_pk_fma_f32 v[70:71], v[44:45], v[8:9], v[42:43] op_sel:[0,0,1] op_sel_hi:[1,1,0] neg_lo:[0,0,1] neg_hi:[0,0,1]
	v_pk_fma_f32 v[66:67], v[44:45], v[8:9], v[42:43] op_sel:[0,0,1] op_sel_hi:[1,0,0]
	ds_read2_b64 v[42:45], v81 offset0:72 offset1:174
	v_mov_b32_e32 v10, v15
	s_waitcnt lgkmcnt(1)
	v_pk_mul_f32 v[74:75], v[32:33], v[10:11] op_sel_hi:[1,0]
	v_accvgpr_read_b32 v0, a40
	v_pk_fma_f32 v[76:77], v[32:33], v[14:15], v[74:75] op_sel:[0,0,1] op_sel_hi:[1,1,0] neg_lo:[0,0,1] neg_hi:[0,0,1]
	v_pk_fma_f32 v[74:75], v[32:33], v[14:15], v[74:75] op_sel:[0,0,1] op_sel_hi:[1,0,0]
	s_waitcnt vmcnt(2)
	v_pk_mul_f32 v[32:33], v[34:35], v[242:243] op_sel:[0,1]
	v_mov_b32_e32 v248, v245
	v_pk_fma_f32 v[82:83], v[34:35], v[242:243], v[32:33] op_sel:[0,0,1] op_sel_hi:[1,1,0] neg_lo:[0,0,1] neg_hi:[0,0,1]
	v_pk_fma_f32 v[78:79], v[34:35], v[242:243], v[32:33] op_sel:[0,0,1] op_sel_hi:[1,0,0]
	s_waitcnt vmcnt(1) lgkmcnt(0)
	v_pk_mul_f32 v[32:33], v[44:45], v[24:25] op_sel:[0,1]
	v_pk_mul_f32 v[86:87], v[42:43], v[248:249] op_sel_hi:[1,0]
	v_pk_fma_f32 v[84:85], v[44:45], v[24:25], v[32:33] op_sel:[0,0,1] op_sel_hi:[1,1,0] neg_lo:[0,0,1] neg_hi:[0,0,1]
	v_pk_fma_f32 v[44:45], v[44:45], v[24:25], v[32:33] op_sel:[0,0,1] op_sel_hi:[1,0,0]
	ds_read2_b64 v[32:35], v0 offset0:148 offset1:250
	v_mov_b32_e32 v8, v27
	v_pk_fma_f32 v[88:89], v[42:43], v[244:245], v[86:87] op_sel:[0,0,1] op_sel_hi:[1,1,0] neg_lo:[0,0,1] neg_hi:[0,0,1]
	v_pk_fma_f32 v[42:43], v[42:43], v[244:245], v[86:87] op_sel:[0,0,1] op_sel_hi:[1,0,0]
	v_mov_b32_e32 v85, v45
	s_waitcnt lgkmcnt(0)
	v_pk_mul_f32 v[86:87], v[32:33], v[8:9] op_sel_hi:[1,0]
	v_mov_b32_e32 v47, v49
	v_pk_fma_f32 v[90:91], v[32:33], v[26:27], v[86:87] op_sel:[0,0,1] op_sel_hi:[1,1,0] neg_lo:[0,0,1] neg_hi:[0,0,1]
	v_pk_fma_f32 v[86:87], v[32:33], v[26:27], v[86:87] op_sel:[0,0,1] op_sel_hi:[1,0,0]
	s_waitcnt vmcnt(0)
	v_pk_mul_f32 v[32:33], v[34:35], v[28:29] op_sel:[0,1]
	v_mov_b32_e32 v250, v31
	v_pk_fma_f32 v[92:93], v[34:35], v[28:29], v[32:33] op_sel:[0,0,1] op_sel_hi:[1,1,0] neg_lo:[0,0,1] neg_hi:[0,0,1]
	v_pk_fma_f32 v[94:95], v[34:35], v[28:29], v[32:33] op_sel:[0,0,1] op_sel_hi:[1,0,0]
	ds_read2_b64 v[32:35], v80 offset1:102
	v_mov_b32_e32 v89, v43
	v_mov_b32_e32 v69, v61
	;; [unrolled: 1-line block ×4, first 2 shown]
	s_waitcnt lgkmcnt(0)
	v_pk_mul_f32 v[44:45], v[34:35], v[20:21] op_sel:[0,1]
	v_mov_b32_e32 v71, v67
	v_pk_fma_f32 v[48:49], v[34:35], v[20:21], v[44:45] op_sel:[0,0,1] op_sel_hi:[1,1,0] neg_lo:[0,0,1] neg_hi:[0,0,1]
	v_pk_fma_f32 v[34:35], v[34:35], v[20:21], v[44:45] op_sel:[0,0,1] op_sel_hi:[1,0,0]
	v_mov_b32_e32 v53, v51
	v_mov_b32_e32 v49, v35
	ds_read_b64 v[34:35], v80 offset:13056
	v_mov_b32_e32 v55, v57
	v_mov_b32_e32 v77, v75
	;; [unrolled: 1-line block ×4, first 2 shown]
	s_waitcnt lgkmcnt(0)
	v_pk_mul_f32 v[42:43], v[34:35], v[250:251] op_sel_hi:[1,0]
	v_mov_b32_e32 v93, v95
	v_pk_fma_f32 v[44:45], v[34:35], v[30:31], v[42:43] op_sel:[0,0,1] op_sel_hi:[1,1,0] neg_lo:[0,0,1] neg_hi:[0,0,1]
	v_pk_fma_f32 v[34:35], v[34:35], v[30:31], v[42:43] op_sel:[0,0,1] op_sel_hi:[1,0,0]
	v_pk_add_f32 v[60:61], v[52:53], v[54:55]
	v_mov_b32_e32 v45, v35
	v_pk_add_f32 v[34:35], v[32:33], v[48:49]
	v_pk_add_f32 v[74:75], v[48:49], v[44:45] neg_lo:[0,1] neg_hi:[0,1]
	v_pk_add_f32 v[34:35], v[34:35], v[68:69]
	v_pk_add_f32 v[64:65], v[52:53], v[54:55] neg_lo:[0,1] neg_hi:[0,1]
	v_pk_add_f32 v[34:35], v[34:35], v[62:63]
	v_pk_add_f32 v[78:79], v[46:47], v[76:77]
	v_pk_add_f32 v[34:35], v[34:35], v[72:73]
	v_pk_add_f32 v[130:131], v[46:47], v[76:77] neg_lo:[0,1] neg_hi:[0,1]
	v_pk_add_f32 v[34:35], v[34:35], v[70:71]
	v_pk_add_f32 v[126:127], v[72:73], v[84:85] neg_lo:[0,1] neg_hi:[0,1]
	v_pk_add_f32 v[34:35], v[34:35], v[38:39]
	v_pk_add_f32 v[132:133], v[62:63], v[90:91]
	;; [unrolled: 6-line block ×3, first 2 shown]
	v_pk_add_f32 v[34:35], v[34:35], v[76:77]
	v_pk_add_f32 v[76:77], v[72:73], v[84:85]
	;; [unrolled: 1-line block ×7, first 2 shown]
	v_pk_add_f32 v[58:59], v[38:39], v[82:83] neg_lo:[0,1] neg_hi:[0,1]
	v_pk_add_f32 v[34:35], v[34:35], v[90:91]
	v_pk_mul_f32 v[46:47], v[134:135], s[28:29] op_sel:[1,0] op_sel_hi:[0,0]
	v_pk_add_f32 v[34:35], v[34:35], v[92:93]
	v_pk_mul_f32 v[48:49], v[126:127], s[16:17] op_sel:[1,0] op_sel_hi:[0,0]
	;; [unrolled: 2-line block ×3, first 2 shown]
	v_pk_fma_f32 v[38:39], v[68:69], s[44:45], v[34:35] op_sel_hi:[1,0,1]
	v_pk_fma_f32 v[42:43], v[68:69], s[44:45], v[34:35] op_sel_hi:[1,0,1] neg_lo:[0,0,1] neg_hi:[0,0,1]
	v_pk_mul_f32 v[44:45], v[62:63], s[22:23] op_sel:[1,0] op_sel_hi:[0,0]
	v_pk_fma_f32 v[34:35], v[54:55], s[46:47], v[44:45] op_sel_hi:[1,0,1]
	v_pk_fma_f32 v[44:45], v[54:55], s[46:47], v[44:45] op_sel_hi:[1,0,1] neg_lo:[0,0,1] neg_hi:[0,0,1]
	v_mov_b32_e32 v37, v43
	v_mov_b32_e32 v43, v39
	v_pk_add_f32 v[42:43], v[32:33], v[42:43]
	v_mov_b32_e32 v39, v45
	v_mov_b32_e32 v45, v35
	v_pk_add_f32 v[44:45], v[44:45], v[42:43]
	v_pk_fma_f32 v[42:43], v[132:133], s[48:49], v[46:47] op_sel_hi:[1,0,1]
	v_pk_fma_f32 v[46:47], v[132:133], s[48:49], v[46:47] op_sel_hi:[1,0,1] neg_lo:[0,0,1] neg_hi:[0,0,1]
	v_pk_add_f32 v[66:67], v[70:71], v[88:89]
	v_mov_b32_e32 v41, v47
	v_mov_b32_e32 v47, v43
	v_pk_add_f32 v[70:71], v[70:71], v[88:89] neg_lo:[0,1] neg_hi:[0,1]
	v_pk_add_f32 v[46:47], v[46:47], v[44:45]
	v_pk_fma_f32 v[44:45], v[76:77], s[50:51], v[48:49] op_sel_hi:[1,0,1]
	v_pk_fma_f32 v[48:49], v[76:77], s[50:51], v[48:49] op_sel_hi:[1,0,1] neg_lo:[0,0,1] neg_hi:[0,0,1]
	v_pk_mul_f32 v[50:51], v[70:71], s[14:15] op_sel:[1,0] op_sel_hi:[0,0]
	v_mov_b32_e32 v43, v49
	v_mov_b32_e32 v49, v45
	v_pk_add_f32 v[48:49], v[48:49], v[46:47]
	v_pk_fma_f32 v[46:47], v[66:67], s[56:57], v[50:51] op_sel_hi:[1,0,1]
	v_pk_fma_f32 v[50:51], v[66:67], s[56:57], v[50:51] op_sel_hi:[1,0,1] neg_lo:[0,0,1] neg_hi:[0,0,1]
	v_pk_mul_f32 v[56:57], v[58:59], s[12:13] op_sel:[1,0] op_sel_hi:[0,0]
	v_mov_b32_e32 v45, v51
	v_mov_b32_e32 v51, v47
	v_pk_add_f32 v[50:51], v[50:51], v[48:49]
	v_pk_fma_f32 v[48:49], v[52:53], s[52:53], v[56:57] op_sel_hi:[1,0,1]
	v_pk_fma_f32 v[56:57], v[52:53], s[52:53], v[56:57] op_sel_hi:[1,0,1] neg_lo:[0,0,1] neg_hi:[0,0,1]
	v_mul_u32_u24_e32 v0, 0x121, v36
	v_mov_b32_e32 v47, v57
	v_mov_b32_e32 v57, v49
	v_pk_add_f32 v[82:83], v[56:57], v[50:51]
	v_pk_mul_f32 v[50:51], v[130:131], s[20:21] op_sel:[1,0] op_sel_hi:[0,0]
	v_pk_fma_f32 v[56:57], v[78:79], s[58:59], v[50:51] op_sel_hi:[1,0,1]
	v_pk_fma_f32 v[84:85], v[78:79], s[58:59], v[50:51] op_sel_hi:[1,0,1] neg_lo:[0,0,1] neg_hi:[0,0,1]
	v_add_lshl_u32 v0, v0, v40, 3
	v_mov_b32_e32 v51, v85
	v_mov_b32_e32 v85, v57
	v_pk_add_f32 v[82:83], v[84:85], v[82:83]
	v_pk_mul_f32 v[84:85], v[64:65], s[18:19] op_sel:[1,0] op_sel_hi:[0,0]
	v_pk_fma_f32 v[136:137], v[60:61], s[54:55], v[84:85] op_sel_hi:[1,0,1]
	v_pk_fma_f32 v[84:85], v[60:61], s[54:55], v[84:85] op_sel_hi:[1,0,1] neg_lo:[0,0,1] neg_hi:[0,0,1]
	s_nop 0
	v_mov_b32_e32 v57, v85
	v_mov_b32_e32 v85, v137
	v_pk_add_f32 v[82:83], v[84:85], v[82:83]
	s_barrier
	ds_write2_b64 v0, v[72:73], v[82:83] offset1:17
	v_pk_mul_f32 v[72:73], v[74:75], s[22:23] op_sel:[1,0] op_sel_hi:[0,0]
	v_pk_fma_f32 v[144:145], v[68:69], s[46:47], v[72:73] op_sel_hi:[1,0,1]
	v_pk_fma_f32 v[82:83], v[68:69], s[46:47], v[72:73] op_sel_hi:[1,0,1] neg_lo:[0,0,1] neg_hi:[0,0,1]
	v_pk_mul_f32 v[84:85], v[62:63], s[16:17] op_sel:[1,0] op_sel_hi:[0,0]
	v_pk_fma_f32 v[72:73], v[54:55], s[50:51], v[84:85] op_sel_hi:[1,0,1]
	v_pk_fma_f32 v[84:85], v[54:55], s[50:51], v[84:85] op_sel_hi:[1,0,1] neg_lo:[0,0,1] neg_hi:[0,0,1]
	v_mov_b32_e32 v153, v83
	v_mov_b32_e32 v83, v145
	v_pk_add_f32 v[82:83], v[32:33], v[82:83]
	v_mov_b32_e32 v35, v85
	v_mov_b32_e32 v85, v73
	v_pk_add_f32 v[82:83], v[84:85], v[82:83]
	v_pk_mul_f32 v[84:85], v[134:135], s[12:13] op_sel:[1,0] op_sel_hi:[0,0]
	v_pk_fma_f32 v[138:139], v[132:133], s[52:53], v[84:85] op_sel_hi:[1,0,1]
	v_pk_fma_f32 v[84:85], v[132:133], s[52:53], v[84:85] op_sel_hi:[1,0,1] neg_lo:[0,0,1] neg_hi:[0,0,1]
	v_pk_mul_f32 v[86:87], v[62:63], s[12:13] op_sel:[1,0] op_sel_hi:[0,0]
	v_mov_b32_e32 v137, v85
	v_mov_b32_e32 v85, v139
	v_pk_add_f32 v[82:83], v[84:85], v[82:83]
	v_pk_mul_f32 v[84:85], v[126:127], s[18:19] op_sel:[1,0] op_sel_hi:[0,0]
	v_pk_fma_f32 v[150:151], v[76:77], s[54:55], v[84:85] op_sel_hi:[1,0,1]
	v_pk_fma_f32 v[84:85], v[76:77], s[54:55], v[84:85] op_sel_hi:[1,0,1] neg_lo:[0,0,1] neg_hi:[0,0,1]
	v_pk_fma_f32 v[148:149], v[54:55], s[52:53], v[86:87] op_sel_hi:[1,0,1]
	v_mov_b32_e32 v139, v85
	v_mov_b32_e32 v85, v151
	v_pk_add_f32 v[82:83], v[84:85], v[82:83]
	v_pk_mul_f32 v[84:85], v[70:71], s[36:37] op_sel:[1,0] op_sel_hi:[0,0]
	v_pk_fma_f32 v[140:141], v[66:67], s[58:59], v[84:85] op_sel_hi:[1,0,1]
	v_pk_fma_f32 v[84:85], v[66:67], s[58:59], v[84:85] op_sel_hi:[1,0,1] neg_lo:[0,0,1] neg_hi:[0,0,1]
	v_pk_fma_f32 v[86:87], v[54:55], s[52:53], v[86:87] op_sel_hi:[1,0,1] neg_lo:[0,0,1] neg_hi:[0,0,1]
	v_mov_b32_e32 v49, v85
	v_mov_b32_e32 v85, v141
	v_pk_add_f32 v[82:83], v[84:85], v[82:83]
	v_pk_mul_f32 v[84:85], v[58:59], s[34:35] op_sel:[1,0] op_sel_hi:[0,0]
	v_pk_fma_f32 v[142:143], v[52:53], s[56:57], v[84:85] op_sel_hi:[1,0,1]
	v_pk_fma_f32 v[84:85], v[52:53], s[56:57], v[84:85] op_sel_hi:[1,0,1] neg_lo:[0,0,1] neg_hi:[0,0,1]
	v_mov_b32_e32 v73, v87
	v_mov_b32_e32 v141, v85
	v_mov_b32_e32 v85, v143
	v_pk_add_f32 v[82:83], v[84:85], v[82:83]
	v_pk_mul_f32 v[84:85], v[130:131], s[26:27] op_sel:[1,0] op_sel_hi:[0,0]
	v_pk_fma_f32 v[146:147], v[78:79], s[48:49], v[84:85] op_sel_hi:[1,0,1]
	v_pk_fma_f32 v[84:85], v[78:79], s[48:49], v[84:85] op_sel_hi:[1,0,1] neg_lo:[0,0,1] neg_hi:[0,0,1]
	v_mov_b32_e32 v87, v149
	v_mov_b32_e32 v145, v85
	;; [unrolled: 1-line block ×3, first 2 shown]
	v_pk_add_f32 v[82:83], v[84:85], v[82:83]
	v_pk_mul_f32 v[84:85], v[64:65], s[24:25] op_sel:[1,0] op_sel_hi:[0,0]
	v_pk_fma_f32 v[154:155], v[60:61], s[44:45], v[84:85] op_sel_hi:[1,0,1]
	v_pk_fma_f32 v[84:85], v[60:61], s[44:45], v[84:85] op_sel_hi:[1,0,1] neg_lo:[0,0,1] neg_hi:[0,0,1]
	v_pk_mul_f32 v[90:91], v[130:131], s[38:39] op_sel:[1,0] op_sel_hi:[0,0]
	v_mov_b32_e32 v147, v85
	v_mov_b32_e32 v85, v155
	v_pk_add_f32 v[82:83], v[84:85], v[82:83]
	v_pk_mul_f32 v[84:85], v[74:75], s[28:29] op_sel:[1,0] op_sel_hi:[0,0]
	v_pk_fma_f32 v[160:161], v[68:69], s[48:49], v[84:85] op_sel_hi:[1,0,1]
	v_pk_fma_f32 v[84:85], v[68:69], s[48:49], v[84:85] op_sel_hi:[1,0,1] neg_lo:[0,0,1] neg_hi:[0,0,1]
	v_pk_mul_f32 v[92:93], v[126:127], s[28:29] op_sel:[1,0] op_sel_hi:[0,0]
	v_mov_b32_e32 v169, v85
	v_mov_b32_e32 v85, v161
	v_pk_add_f32 v[84:85], v[32:33], v[84:85]
	v_pk_mul_f32 v[94:95], v[70:71], s[18:19] op_sel:[1,0] op_sel_hi:[0,0]
	v_pk_add_f32 v[84:85], v[86:87], v[84:85]
	v_pk_mul_f32 v[86:87], v[134:135], s[42:43] op_sel:[1,0] op_sel_hi:[0,0]
	v_pk_fma_f32 v[164:165], v[132:133], s[54:55], v[86:87] op_sel_hi:[1,0,1]
	v_pk_fma_f32 v[86:87], v[132:133], s[54:55], v[86:87] op_sel_hi:[1,0,1] neg_lo:[0,0,1] neg_hi:[0,0,1]
	v_pk_mul_f32 v[96:97], v[58:59], s[40:41] op_sel:[1,0] op_sel_hi:[0,0]
	v_mov_b32_e32 v151, v87
	v_mov_b32_e32 v87, v165
	v_pk_add_f32 v[84:85], v[86:87], v[84:85]
	v_pk_mul_f32 v[86:87], v[126:127], s[34:35] op_sel:[1,0] op_sel_hi:[0,0]
	v_pk_fma_f32 v[166:167], v[76:77], s[56:57], v[86:87] op_sel_hi:[1,0,1]
	v_pk_fma_f32 v[86:87], v[76:77], s[56:57], v[86:87] op_sel_hi:[1,0,1] neg_lo:[0,0,1] neg_hi:[0,0,1]
	v_pk_mul_f32 v[110:111], v[64:65], s[12:13] op_sel:[1,0] op_sel_hi:[0,0]
	v_mov_b32_e32 v155, v87
	v_mov_b32_e32 v87, v167
	;; [unrolled: 7-line block ×3, first 2 shown]
	v_pk_add_f32 v[84:85], v[86:87], v[84:85]
	v_pk_mul_f32 v[86:87], v[58:59], s[2:3] op_sel:[1,0] op_sel_hi:[0,0]
	v_pk_fma_f32 v[158:159], v[52:53], s[44:45], v[86:87] op_sel_hi:[1,0,1]
	v_pk_fma_f32 v[86:87], v[52:53], s[44:45], v[86:87] op_sel_hi:[1,0,1] neg_lo:[0,0,1] neg_hi:[0,0,1]
	v_pk_fma_f32 v[214:215], v[54:55], s[48:49], v[212:213] op_sel_hi:[1,0,1] neg_lo:[0,0,1] neg_hi:[0,0,1]
	v_mov_b32_e32 v157, v87
	v_mov_b32_e32 v87, v159
	v_pk_add_f32 v[84:85], v[86:87], v[84:85]
	v_pk_mul_f32 v[86:87], v[130:131], s[16:17] op_sel:[1,0] op_sel_hi:[0,0]
	v_pk_fma_f32 v[162:163], v[78:79], s[50:51], v[86:87] op_sel_hi:[1,0,1]
	v_pk_fma_f32 v[86:87], v[78:79], s[50:51], v[86:87] op_sel_hi:[1,0,1] neg_lo:[0,0,1] neg_hi:[0,0,1]
	v_pk_fma_f32 v[212:213], v[54:55], s[48:49], v[212:213] op_sel_hi:[1,0,1]
	v_mov_b32_e32 v161, v87
	v_mov_b32_e32 v87, v163
	v_pk_add_f32 v[84:85], v[86:87], v[84:85]
	v_pk_mul_f32 v[86:87], v[64:65], s[20:21] op_sel:[1,0] op_sel_hi:[0,0]
	v_pk_fma_f32 v[170:171], v[60:61], s[58:59], v[86:87] op_sel_hi:[1,0,1]
	v_pk_fma_f32 v[86:87], v[60:61], s[58:59], v[86:87] op_sel_hi:[1,0,1] neg_lo:[0,0,1] neg_hi:[0,0,1]
	v_mov_b32_e32 v216, v214
	v_mov_b32_e32 v163, v87
	;; [unrolled: 1-line block ×3, first 2 shown]
	v_pk_add_f32 v[84:85], v[86:87], v[84:85]
	ds_write2_b64 v0, v[82:83], v[84:85] offset0:34 offset1:51
	v_pk_mul_f32 v[82:83], v[74:75], s[16:17] op_sel:[1,0] op_sel_hi:[0,0]
	v_pk_fma_f32 v[86:87], v[68:69], s[50:51], v[82:83] op_sel_hi:[1,0,1]
	v_pk_fma_f32 v[84:85], v[68:69], s[50:51], v[82:83] op_sel_hi:[1,0,1] neg_lo:[0,0,1] neg_hi:[0,0,1]
	v_pk_mul_f32 v[82:83], v[62:63], s[18:19] op_sel:[1,0] op_sel_hi:[0,0]
	v_pk_fma_f32 v[172:173], v[54:55], s[54:55], v[82:83] op_sel_hi:[1,0,1]
	v_pk_fma_f32 v[88:89], v[54:55], s[54:55], v[82:83] op_sel_hi:[1,0,1] neg_lo:[0,0,1] neg_hi:[0,0,1]
	v_mov_b32_e32 v83, v85
	v_mov_b32_e32 v85, v87
	v_pk_add_f32 v[84:85], v[32:33], v[84:85]
	v_mov_b32_e32 v165, v89
	v_mov_b32_e32 v89, v173
	v_pk_add_f32 v[84:85], v[88:89], v[84:85]
	v_pk_mul_f32 v[88:89], v[134:135], s[34:35] op_sel:[1,0] op_sel_hi:[0,0]
	v_pk_fma_f32 v[176:177], v[132:133], s[56:57], v[88:89] op_sel_hi:[1,0,1]
	v_pk_fma_f32 v[88:89], v[132:133], s[56:57], v[88:89] op_sel_hi:[1,0,1] neg_lo:[0,0,1] neg_hi:[0,0,1]
	v_mov_b32_e32 v217, v213
	v_mov_b32_e32 v175, v89
	v_mov_b32_e32 v89, v177
	v_pk_add_f32 v[84:85], v[88:89], v[84:85]
	v_pk_mul_f32 v[88:89], v[126:127], s[24:25] op_sel:[1,0] op_sel_hi:[0,0]
	v_pk_fma_f32 v[182:183], v[76:77], s[44:45], v[88:89] op_sel_hi:[1,0,1]
	v_pk_fma_f32 v[88:89], v[76:77], s[44:45], v[88:89] op_sel_hi:[1,0,1] neg_lo:[0,0,1] neg_hi:[0,0,1]
	v_mov_b32_e32 v82, v86
	;; [unrolled: 7-line block ×4, first 2 shown]
	v_mov_b32_e32 v173, v89
	v_mov_b32_e32 v89, v181
	v_pk_add_f32 v[88:89], v[88:89], v[84:85]
	v_pk_fma_f32 v[84:85], v[78:79], s[52:53], v[90:91] op_sel_hi:[1,0,1]
	v_pk_fma_f32 v[90:91], v[78:79], s[52:53], v[90:91] op_sel_hi:[1,0,1] neg_lo:[0,0,1] neg_hi:[0,0,1]
	v_mov_b32_e32 v168, v160
	v_mov_b32_e32 v183, v91
	;; [unrolled: 1-line block ×3, first 2 shown]
	v_pk_add_f32 v[88:89], v[90:91], v[88:89]
	v_pk_mul_f32 v[90:91], v[64:65], s[30:31] op_sel:[1,0] op_sel_hi:[0,0]
	v_pk_fma_f32 v[102:103], v[60:61], s[46:47], v[90:91] op_sel_hi:[1,0,1]
	v_pk_fma_f32 v[90:91], v[60:61], s[46:47], v[90:91] op_sel_hi:[1,0,1] neg_lo:[0,0,1] neg_hi:[0,0,1]
	v_pk_add_f32 v[36:37], v[32:33], v[36:37]
	v_mov_b32_e32 v167, v91
	v_mov_b32_e32 v91, v103
	v_pk_add_f32 v[106:107], v[90:91], v[88:89]
	v_pk_mul_f32 v[88:89], v[74:75], s[14:15] op_sel:[1,0] op_sel_hi:[0,0]
	v_pk_fma_f32 v[104:105], v[68:69], s[56:57], v[88:89] op_sel_hi:[1,0,1] neg_lo:[0,0,1] neg_hi:[0,0,1]
	v_pk_fma_f32 v[98:99], v[68:69], s[56:57], v[88:89] op_sel_hi:[1,0,1]
	v_pk_mul_f32 v[90:91], v[62:63], s[36:37] op_sel:[1,0] op_sel_hi:[0,0]
	v_mov_b32_e32 v88, v104
	v_mov_b32_e32 v89, v99
	v_pk_fma_f32 v[184:185], v[54:55], s[58:59], v[90:91] op_sel_hi:[1,0,1] neg_lo:[0,0,1] neg_hi:[0,0,1]
	v_pk_fma_f32 v[186:187], v[54:55], s[58:59], v[90:91] op_sel_hi:[1,0,1]
	v_pk_add_f32 v[88:89], v[32:33], v[88:89]
	v_mov_b32_e32 v90, v184
	v_mov_b32_e32 v91, v187
	v_pk_add_f32 v[88:89], v[90:91], v[88:89]
	v_pk_mul_f32 v[90:91], v[134:135], s[30:31] op_sel:[1,0] op_sel_hi:[0,0]
	v_pk_fma_f32 v[190:191], v[132:133], s[46:47], v[90:91] op_sel_hi:[1,0,1] neg_lo:[0,0,1] neg_hi:[0,0,1]
	v_pk_fma_f32 v[188:189], v[132:133], s[46:47], v[90:91] op_sel_hi:[1,0,1]
	v_mov_b32_e32 v90, v190
	v_mov_b32_e32 v91, v189
	v_pk_add_f32 v[88:89], v[90:91], v[88:89]
	v_pk_fma_f32 v[90:91], v[76:77], s[48:49], v[92:93] op_sel_hi:[1,0,1]
	v_pk_fma_f32 v[92:93], v[76:77], s[48:49], v[92:93] op_sel_hi:[1,0,1] neg_lo:[0,0,1] neg_hi:[0,0,1]
	v_mov_b32_e32 v99, v105
	v_mov_b32_e32 v193, v93
	v_mov_b32_e32 v93, v91
	v_pk_add_f32 v[88:89], v[92:93], v[88:89]
	v_pk_fma_f32 v[92:93], v[66:67], s[54:55], v[94:95] op_sel_hi:[1,0,1]
	v_pk_fma_f32 v[94:95], v[66:67], s[54:55], v[94:95] op_sel_hi:[1,0,1] neg_lo:[0,0,1] neg_hi:[0,0,1]
	v_mov_b32_e32 v213, v215
	;; [unrolled: 6-line block ×3, first 2 shown]
	v_mov_b32_e32 v87, v97
	v_mov_b32_e32 v97, v95
	v_pk_add_f32 v[96:97], v[96:97], v[88:89]
	v_pk_mul_f32 v[88:89], v[130:131], s[2:3] op_sel:[1,0] op_sel_hi:[0,0]
	v_pk_fma_f32 v[100:101], v[78:79], s[44:45], v[88:89] op_sel_hi:[1,0,1]
	v_pk_fma_f32 v[108:109], v[78:79], s[44:45], v[88:89] op_sel_hi:[1,0,1] neg_lo:[0,0,1] neg_hi:[0,0,1]
	v_mov_b32_e32 v56, v136
	v_mov_b32_e32 v89, v109
	;; [unrolled: 1-line block ×3, first 2 shown]
	v_pk_add_f32 v[108:109], v[108:109], v[96:97]
	v_pk_fma_f32 v[96:97], v[60:61], s[52:53], v[110:111] op_sel_hi:[1,0,1]
	v_pk_fma_f32 v[110:111], v[60:61], s[52:53], v[110:111] op_sel_hi:[1,0,1] neg_lo:[0,0,1] neg_hi:[0,0,1]
	v_mov_b32_e32 v136, v138
	v_mov_b32_e32 v91, v111
	;; [unrolled: 1-line block ×3, first 2 shown]
	v_pk_add_f32 v[108:109], v[110:111], v[108:109]
	ds_write2_b64 v0, v[106:107], v[108:109] offset0:68 offset1:85
	v_pk_mul_f32 v[106:107], v[74:75], s[12:13] op_sel:[1,0] op_sel_hi:[0,0]
	v_pk_fma_f32 v[128:129], v[68:69], s[52:53], v[106:107] op_sel_hi:[1,0,1] neg_lo:[0,0,1] neg_hi:[0,0,1]
	v_pk_fma_f32 v[120:121], v[68:69], s[52:53], v[106:107] op_sel_hi:[1,0,1]
	v_mov_b32_e32 v106, v128
	v_mov_b32_e32 v107, v121
	v_pk_mul_f32 v[108:109], v[62:63], s[34:35] op_sel:[1,0] op_sel_hi:[0,0]
	v_pk_add_f32 v[110:111], v[32:33], v[106:107]
	v_pk_fma_f32 v[106:107], v[54:55], s[56:57], v[108:109] op_sel_hi:[1,0,1] neg_lo:[0,0,1] neg_hi:[0,0,1]
	v_pk_fma_f32 v[108:109], v[54:55], s[56:57], v[108:109] op_sel_hi:[1,0,1]
	v_mov_b32_e32 v112, v106
	v_mov_b32_e32 v113, v109
	v_pk_add_f32 v[112:113], v[112:113], v[110:111]
	v_pk_mul_f32 v[110:111], v[134:135], s[2:3] op_sel:[1,0] op_sel_hi:[0,0]
	v_pk_fma_f32 v[114:115], v[132:133], s[44:45], v[110:111] op_sel_hi:[1,0,1] neg_lo:[0,0,1] neg_hi:[0,0,1]
	v_pk_fma_f32 v[110:111], v[132:133], s[44:45], v[110:111] op_sel_hi:[1,0,1]
	v_mov_b32_e32 v116, v114
	v_mov_b32_e32 v117, v111
	v_pk_add_f32 v[116:117], v[116:117], v[112:113]
	v_pk_mul_f32 v[112:113], v[126:127], s[20:21] op_sel:[1,0] op_sel_hi:[0,0]
	;; [unrolled: 6-line block ×8, first 2 shown]
	v_pk_add_f32 v[210:211], v[216:217], v[210:211]
	v_pk_mul_f32 v[216:217], v[134:135], s[16:17] op_sel:[1,0] op_sel_hi:[0,0]
	v_pk_fma_f32 v[218:219], v[132:133], s[50:51], v[216:217] op_sel_hi:[1,0,1] neg_lo:[0,0,1] neg_hi:[0,0,1]
	v_pk_fma_f32 v[216:217], v[132:133], s[50:51], v[216:217] op_sel_hi:[1,0,1]
	v_mov_b32_e32 v220, v218
	v_mov_b32_e32 v221, v217
	v_pk_add_f32 v[210:211], v[220:221], v[210:211]
	v_pk_mul_f32 v[220:221], v[126:127], s[38:39] op_sel:[1,0] op_sel_hi:[0,0]
	v_pk_fma_f32 v[222:223], v[76:77], s[52:53], v[220:221] op_sel_hi:[1,0,1] neg_lo:[0,0,1] neg_hi:[0,0,1]
	v_pk_fma_f32 v[220:221], v[76:77], s[52:53], v[220:221] op_sel_hi:[1,0,1]
	v_mov_b32_e32 v224, v222
	v_mov_b32_e32 v225, v221
	;; [unrolled: 6-line block ×6, first 2 shown]
	v_pk_add_f32 v[210:211], v[240:241], v[210:211]
	v_pk_mul_f32 v[130:131], v[130:131], s[14:15] op_sel:[1,0] op_sel_hi:[0,0]
	ds_write2_b64 v0, v[194:195], v[210:211] offset0:102 offset1:119
	v_pk_fma_f32 v[194:195], v[78:79], s[56:57], v[130:131] op_sel_hi:[1,0,1] neg_lo:[0,0,1] neg_hi:[0,0,1]
	v_pk_fma_f32 v[78:79], v[78:79], s[56:57], v[130:131] op_sel_hi:[1,0,1]
	v_pk_mul_f32 v[130:131], v[134:135], s[20:21] op_sel:[1,0] op_sel_hi:[0,0]
	v_pk_mul_f32 v[126:127], v[126:127], s[30:31] op_sel:[1,0] op_sel_hi:[0,0]
	;; [unrolled: 1-line block ×3, first 2 shown]
	v_pk_fma_f32 v[134:135], v[132:133], s[58:59], v[130:131] op_sel_hi:[1,0,1] neg_lo:[0,0,1] neg_hi:[0,0,1]
	v_pk_fma_f32 v[130:131], v[132:133], s[58:59], v[130:131] op_sel_hi:[1,0,1]
	v_pk_fma_f32 v[132:133], v[76:77], s[46:47], v[126:127] op_sel_hi:[1,0,1] neg_lo:[0,0,1] neg_hi:[0,0,1]
	v_pk_fma_f32 v[76:77], v[76:77], s[46:47], v[126:127] op_sel_hi:[1,0,1]
	;; [unrolled: 2-line block ×3, first 2 shown]
	v_pk_mul_f32 v[64:65], v[70:71], s[12:13] op_sel:[1,0] op_sel_hi:[0,0]
	v_pk_mul_f32 v[58:59], v[58:59], s[26:27] op_sel:[1,0] op_sel_hi:[0,0]
	v_pk_fma_f32 v[70:71], v[66:67], s[52:53], v[64:65] op_sel_hi:[1,0,1] neg_lo:[0,0,1] neg_hi:[0,0,1]
	v_pk_fma_f32 v[64:65], v[66:67], s[52:53], v[64:65] op_sel_hi:[1,0,1]
	v_pk_fma_f32 v[66:67], v[52:53], s[48:49], v[58:59] op_sel_hi:[1,0,1] neg_lo:[0,0,1] neg_hi:[0,0,1]
	v_pk_fma_f32 v[52:53], v[52:53], s[48:49], v[58:59] op_sel_hi:[1,0,1]
	v_pk_mul_f32 v[58:59], v[74:75], s[18:19] op_sel:[1,0] op_sel_hi:[0,0]
	v_pk_fma_f32 v[74:75], v[68:69], s[54:55], v[58:59] op_sel_hi:[1,0,1] neg_lo:[0,0,1] neg_hi:[0,0,1]
	v_pk_fma_f32 v[58:59], v[68:69], s[54:55], v[58:59] op_sel_hi:[1,0,1]
	v_pk_fma_f32 v[68:69], v[54:55], s[44:45], v[62:63] op_sel_hi:[1,0,1] neg_lo:[0,0,1] neg_hi:[0,0,1]
	v_pk_fma_f32 v[54:55], v[54:55], s[44:45], v[62:63] op_sel_hi:[1,0,1]
	v_mov_b32_e32 v62, v74
	v_mov_b32_e32 v63, v59
	;; [unrolled: 1-line block ×3, first 2 shown]
	v_pk_add_f32 v[62:63], v[32:33], v[62:63]
	v_mov_b32_e32 v210, v68
	v_mov_b32_e32 v211, v55
	v_mov_b32_e32 v55, v69
	v_pk_add_f32 v[58:59], v[32:33], v[58:59]
	v_pk_add_f32 v[62:63], v[210:211], v[62:63]
	v_mov_b32_e32 v210, v134
	v_mov_b32_e32 v211, v131
	v_mov_b32_e32 v131, v135
	v_pk_add_f32 v[54:55], v[54:55], v[58:59]
	;; [unrolled: 5-line block ×7, first 2 shown]
	v_pk_add_f32 v[62:63], v[210:211], v[62:63]
	v_pk_add_f32 v[52:53], v[60:61], v[52:53]
	v_mov_b32_e32 v207, v209
	v_mov_b32_e32 v121, v129
	ds_write2_b64 v0, v[62:63], v[52:53] offset0:136 offset1:153
	v_pk_add_f32 v[52:53], v[32:33], v[82:83]
	v_pk_add_f32 v[54:55], v[32:33], v[152:153]
	v_pk_add_f32 v[58:59], v[32:33], v[168:169]
	v_pk_add_f32 v[60:61], v[32:33], v[98:99]
	v_pk_add_f32 v[62:63], v[32:33], v[206:207]
	v_pk_add_f32 v[32:33], v[32:33], v[120:121]
	v_mov_b32_e32 v109, v107
	v_mov_b32_e32 v217, v219
	v_pk_add_f32 v[62:63], v[212:213], v[62:63]
	v_mov_b32_e32 v111, v115
	v_pk_add_f32 v[32:33], v[108:109], v[32:33]
	;; [unrolled: 2-line block ×12, first 2 shown]
	v_pk_add_f32 v[62:63], v[236:237], v[62:63]
	v_pk_add_f32 v[32:33], v[202:203], v[32:33]
	v_mov_b32_e32 v138, v150
	v_mov_b32_e32 v150, v164
	;; [unrolled: 1-line block ×3, first 2 shown]
	ds_write2_b64 v0, v[62:63], v[32:33] offset0:170 offset1:187
	v_mov_b32_e32 v174, v176
	v_pk_add_f32 v[32:33], v[164:165], v[52:53]
	v_mov_b32_e32 v38, v34
	v_mov_b32_e32 v34, v72
	v_mov_b32_e32 v176, v182
	v_pk_add_f32 v[32:33], v[174:175], v[32:33]
	v_pk_add_f32 v[34:35], v[34:35], v[54:55]
	v_mov_b32_e32 v160, v162
	v_mov_b32_e32 v162, v170
	v_pk_add_f32 v[32:33], v[176:177], v[32:33]
	v_mov_b32_e32 v170, v178
	v_pk_add_f32 v[34:35], v[136:137], v[34:35]
	v_mov_b32_e32 v40, v42
	v_mov_b32_e32 v42, v44
	v_pk_add_f32 v[32:33], v[170:171], v[32:33]
	v_mov_b32_e32 v172, v180
	v_mov_b32_e32 v44, v46
	;; [unrolled: 1-line block ×4, first 2 shown]
	v_pk_add_f32 v[34:35], v[138:139], v[34:35]
	v_mov_b32_e32 v182, v84
	v_pk_add_f32 v[32:33], v[172:173], v[32:33]
	v_mov_b32_e32 v140, v142
	;; [unrolled: 2-line block ×3, first 2 shown]
	v_mov_b32_e32 v146, v154
	v_mov_b32_e32 v154, v166
	;; [unrolled: 1-line block ×3, first 2 shown]
	v_pk_add_f32 v[32:33], v[182:183], v[32:33]
	v_pk_add_f32 v[34:35], v[140:141], v[34:35]
	v_mov_b32_e32 v187, v185
	v_mov_b32_e32 v192, v90
	;; [unrolled: 1-line block ×3, first 2 shown]
	v_pk_add_f32 v[36:37], v[38:39], v[36:37]
	v_pk_add_f32 v[34:35], v[144:145], v[34:35]
	v_mov_b32_e32 v72, v148
	v_pk_add_f32 v[96:97], v[166:167], v[32:33]
	v_mov_b32_e32 v189, v191
	;; [unrolled: 2-line block ×3, first 2 shown]
	v_pk_add_f32 v[36:37], v[40:41], v[36:37]
	v_pk_add_f32 v[92:93], v[146:147], v[34:35]
	;; [unrolled: 1-line block ×7, first 2 shown]
	v_mov_b32_e32 v86, v94
	v_pk_add_f32 v[36:37], v[44:45], v[36:37]
	v_mov_b32_e32 v142, v156
	v_pk_add_f32 v[34:35], v[154:155], v[34:35]
	v_pk_add_f32 v[32:33], v[84:85], v[32:33]
	v_mov_b32_e32 v88, v100
	v_pk_add_f32 v[36:37], v[46:47], v[36:37]
	v_mov_b32_e32 v156, v158
	v_pk_add_f32 v[34:35], v[142:143], v[34:35]
	v_pk_add_f32 v[32:33], v[86:87], v[32:33]
	;; [unrolled: 1-line block ×8, first 2 shown]
	s_load_dwordx2 s[2:3], s[0:1], 0x38
	s_movk_i32 s0, 0x55
	v_pk_add_f32 v[94:95], v[162:163], v[34:35]
	ds_write2_b64 v0, v[158:159], v[96:97] offset0:204 offset1:221
	ds_write2_b64 v0, v[94:95], v[92:93] offset0:238 offset1:255
	v_accvgpr_write_b32 a36, v0
	ds_write_b64 v0, v[82:83] offset:2176
	s_waitcnt lgkmcnt(0)
	s_barrier
	v_cmp_gt_u16_e32 vcc, s0, v1
	v_add_u32_e32 v0, 0x2000, v80
	v_add_u32_e32 v1, 0x2c00, v80
	ds_read2_b64 v[76:79], v5 offset0:33 offset1:135
	ds_read2_b64 v[72:75], v6 offset0:66 offset1:168
	ds_read2_b64 v[68:71], v247 offset0:99 offset1:201
	ds_read2_b64 v[64:67], v0 offset0:132 offset1:234
	ds_read2_b64 v[60:63], v1 offset0:37 offset1:139
	ds_read2_b64 v[56:59], v80 offset1:102
	v_accvgpr_write_b32 a53, v19
	v_accvgpr_write_b32 a57, v23
	v_accvgpr_write_b32 a52, v18
	v_accvgpr_write_b32 a51, v17
	v_accvgpr_write_b32 a50, v16
	v_accvgpr_write_b32 a56, v22
	v_accvgpr_write_b32 a55, v21
	v_accvgpr_write_b32 a54, v20
	v_accvgpr_write_b32 a104, v29
	v_accvgpr_write_b32 a108, v243
	v_accvgpr_write_b32 a106, v25
	v_accvgpr_write_b32 a110, v13
                                        ; implicit-def: $vgpr84
                                        ; implicit-def: $vgpr86
	s_and_saveexec_b64 s[0:1], vcc
	s_cbranch_execz .LBB0_3
; %bb.2:
	ds_read_b64 v[82:83], v80 offset:10880
	ds_read_b64 v[84:85], v80 offset:13192
	;; [unrolled: 1-line block ×6, first 2 shown]
	s_waitcnt lgkmcnt(4)
	v_mov_b32_e32 v86, v85
.LBB0_3:
	s_or_b64 exec, exec, s[0:1]
	v_accvgpr_read_b32 v1, a21
	v_mad_u64_u32 v[88:89], s[0:1], v1, 40, s[10:11]
	s_mov_b64 s[0:1], 0x1870
	v_add_u32_e32 v0, 0xcc, v1
	v_lshl_add_u64 v[90:91], v[88:89], 0, s[0:1]
	v_add_co_u32_e64 v32, s[0:1], s33, v88
	v_add_u32_e32 v1, 0xffffffab, v1
	s_nop 0
	v_addc_co_u32_e64 v33, s[0:1], 0, v89, s[0:1]
	v_cndmask_b32_e32 v0, v1, v0, vcc
	global_load_dwordx4 v[48:51], v[88:89], off offset:2192
	global_load_dwordx4 v[52:55], v[88:89], off offset:2176
	;; [unrolled: 1-line block ×4, first 2 shown]
	v_mul_hi_i32_i24_e32 v33, 40, v0
	v_mul_i32_i24_e32 v32, 40, v0
	v_lshl_add_u64 v[98:99], s[10:11], 0, v[32:33]
	global_load_dwordx4 v[16:19], v[98:99], off offset:2176
	global_load_dwordx4 v[20:23], v[98:99], off offset:2192
	global_load_dwordx2 v[0:1], v[98:99], off offset:2208
	global_load_dwordx2 v[32:33], v[88:89], off offset:2208
	v_mov_b32_e32 v5, v4
	v_accvgpr_write_b32 a41, v5
	v_accvgpr_write_b32 a40, v4
	;; [unrolled: 1-line block ×4, first 2 shown]
	global_load_dwordx2 v[2:3], v[90:91], off offset:32
	s_mov_b32 s0, 0x3f5db3d7
	s_mov_b32 s1, 0xbf5db3d7
	v_mov_b32_e32 v9, v8
	v_accvgpr_write_b32 a65, v9
	v_accvgpr_write_b32 a64, v8
	v_mov_b32_e32 v11, v10
	v_accvgpr_write_b32 a71, v11
	v_accvgpr_write_b32 a70, v10
	v_mov_b32_e32 v15, v14
	v_mov_b32_e32 v247, v246
	v_accvgpr_write_b32 a62, v246
	v_mov_b32_e32 v13, v12
	v_accvgpr_write_b32 a49, v15
	v_mov_b32_e32 v243, v242
	v_mov_b32_e32 v245, v244
	v_accvgpr_write_b32 a58, v242
	v_mov_b32_e32 v249, v248
	v_accvgpr_write_b32 a72, v248
	;; [unrolled: 2-line block ×3, first 2 shown]
	v_accvgpr_write_b32 a63, v247
	v_accvgpr_mov_b32 a111, a110
	v_accvgpr_write_b32 a48, v14
	v_accvgpr_write_b32 a47, v13
	;; [unrolled: 1-line block ×3, first 2 shown]
	v_mov_b32_e32 v25, v24
	v_accvgpr_mov_b32 a107, a106
	v_mov_b32_e32 v27, v26
	v_accvgpr_mov_b32 a109, a108
	v_accvgpr_write_b32 a59, v243
	v_accvgpr_write_b32 a60, v244
	;; [unrolled: 1-line block ×4, first 2 shown]
	v_mov_b32_e32 v29, v28
	v_accvgpr_mov_b32 a105, a104
	v_mov_b32_e32 v31, v30
	v_accvgpr_write_b32 a81, v251
	s_waitcnt vmcnt(8)
	v_mov_b32_e32 v4, v51
	s_waitcnt vmcnt(7) lgkmcnt(5)
	v_pk_mul_f32 v[88:89], v[76:77], v[52:53] op_sel:[0,1]
	v_mov_b32_e32 v6, v55
	v_pk_fma_f32 v[102:103], v[76:77], v[52:53], v[88:89] op_sel:[0,0,1] op_sel_hi:[1,1,0] neg_lo:[0,0,1] neg_hi:[0,0,1]
	v_pk_fma_f32 v[104:105], v[76:77], v[52:53], v[88:89] op_sel:[0,0,1] op_sel_hi:[1,0,0]
	s_waitcnt vmcnt(4) lgkmcnt(2)
	v_pk_mul_f32 v[88:89], v[96:97], v[16:17] op_sel_hi:[0,1]
	s_waitcnt lgkmcnt(1)
	v_pk_mul_f32 v[90:91], v[94:95], v[18:19] op_sel:[1,0]
	s_waitcnt vmcnt(3) lgkmcnt(0)
	v_pk_mul_f32 v[98:99], v[92:93], v[20:21] op_sel_hi:[0,1]
	v_pk_mul_f32 v[100:101], v[82:83], v[22:23] op_sel:[1,0]
	s_waitcnt vmcnt(2)
	v_pk_mul_f32 v[106:107], v[84:85], v[0:1] op_sel_hi:[0,1]
	v_pk_fma_f32 v[76:77], v[96:97], v[16:17], v[88:89] op_sel:[1,0,1] op_sel_hi:[1,1,0]
	v_pk_fma_f32 v[96:97], v[96:97], v[16:17], v[88:89] op_sel:[1,0,1] op_sel_hi:[1,1,0] neg_lo:[1,0,0] neg_hi:[1,0,0]
	v_pk_fma_f32 v[88:89], v[94:95], v[18:19], v[90:91] op_sel:[0,0,1] op_sel_hi:[1,1,0] neg_lo:[0,0,1] neg_hi:[0,0,1]
	v_pk_fma_f32 v[94:95], v[94:95], v[18:19], v[90:91] op_sel:[0,0,1] op_sel_hi:[0,1,0]
	v_pk_fma_f32 v[84:85], v[92:93], v[20:21], v[98:99] op_sel:[1,0,1] op_sel_hi:[1,1,0]
	v_pk_fma_f32 v[92:93], v[92:93], v[20:21], v[98:99] op_sel:[1,0,1] op_sel_hi:[1,1,0] neg_lo:[1,0,0] neg_hi:[1,0,0]
	v_pk_fma_f32 v[90:91], v[82:83], v[22:23], v[100:101] op_sel:[0,0,1] op_sel_hi:[1,1,0] neg_lo:[0,0,1] neg_hi:[0,0,1]
	v_pk_fma_f32 v[98:99], v[82:83], v[22:23], v[100:101] op_sel:[0,0,1] op_sel_hi:[0,1,0]
	v_pk_fma_f32 v[82:83], v[86:87], v[0:1], v[106:107] op_sel:[0,0,1] op_sel_hi:[0,1,0]
	v_pk_fma_f32 v[86:87], v[86:87], v[0:1], v[106:107] op_sel:[0,0,1] op_sel_hi:[0,1,0] neg_lo:[1,0,0] neg_hi:[1,0,0]
	v_mov_b32_e32 v85, v93
	v_mov_b32_e32 v83, v87
	;; [unrolled: 1-line block ×5, first 2 shown]
	v_pk_add_f32 v[94:95], v[84:85], v[82:83]
	v_pk_add_f32 v[96:97], v[84:85], v[82:83] neg_lo:[0,1] neg_hi:[0,1]
	v_pk_add_f32 v[86:87], v[88:89], v[90:91]
	v_pk_add_f32 v[92:93], v[88:89], v[90:91] neg_lo:[0,1] neg_hi:[0,1]
	v_pk_fma_f32 v[100:101], v[94:95], 0.5, v[76:77] op_sel_hi:[1,0,1] neg_lo:[1,0,0] neg_hi:[1,0,0]
	v_pk_mul_f32 v[106:107], v[96:97], s[0:1] op_sel_hi:[1,0]
	v_pk_fma_f32 v[86:87], v[86:87], 0.5, v[158:159] op_sel_hi:[1,0,1] neg_lo:[1,0,0] neg_hi:[1,0,0]
	v_pk_mul_f32 v[92:93], v[92:93], s[0:1] op_sel_hi:[1,0]
	v_pk_add_f32 v[98:99], v[100:101], v[106:107] op_sel:[0,1] op_sel_hi:[1,0]
	v_pk_add_f32 v[100:101], v[100:101], v[106:107] op_sel:[0,1] op_sel_hi:[1,0] neg_lo:[0,1] neg_hi:[0,1]
	v_pk_add_f32 v[94:95], v[86:87], v[92:93] op_sel:[0,1] op_sel_hi:[1,0] neg_lo:[0,1] neg_hi:[0,1]
	v_pk_add_f32 v[96:97], v[86:87], v[92:93] op_sel:[0,1] op_sel_hi:[1,0]
	v_mov_b32_e32 v92, v98
	v_mov_b32_e32 v93, v101
	v_pk_mul_f32 v[106:107], v[92:93], 0.5 op_sel_hi:[1,0]
	v_mov_b32_e32 v103, v105
	v_pk_mul_f32 v[104:105], v[72:73], v[6:7] op_sel_hi:[1,0]
	v_pk_fma_f32 v[92:93], v[92:93], s[0:1], v[106:107] op_sel:[0,0,1] op_sel_hi:[1,1,0] neg_lo:[0,0,1] neg_hi:[0,0,1]
	v_pk_fma_f32 v[106:107], v[72:73], v[54:55], v[104:105] op_sel:[0,0,1] op_sel_hi:[1,1,0] neg_lo:[0,0,1] neg_hi:[0,0,1]
	v_pk_fma_f32 v[72:73], v[72:73], v[54:55], v[104:105] op_sel:[0,0,1] op_sel_hi:[1,0,0]
	v_accvgpr_write_b32 a75, v1
	v_mov_b32_e32 v107, v73
	v_pk_mul_f32 v[72:73], v[68:69], v[48:49] op_sel:[0,1]
	v_mov_b32_e32 v86, v94
	v_pk_fma_f32 v[104:105], v[68:69], v[48:49], v[72:73] op_sel:[0,0,1] op_sel_hi:[1,1,0] neg_lo:[0,0,1] neg_hi:[0,0,1]
	v_pk_fma_f32 v[68:69], v[68:69], v[48:49], v[72:73] op_sel:[0,0,1] op_sel_hi:[1,0,0]
	v_mov_b32_e32 v87, v97
	v_mov_b32_e32 v105, v69
	v_pk_mul_f32 v[68:69], v[64:65], v[4:5] op_sel_hi:[1,0]
	v_accvgpr_write_b32 a74, v0
	v_pk_fma_f32 v[72:73], v[64:65], v[50:51], v[68:69] op_sel:[0,0,1] op_sel_hi:[1,1,0] neg_lo:[0,0,1] neg_hi:[0,0,1]
	v_pk_fma_f32 v[64:65], v[64:65], v[50:51], v[68:69] op_sel:[0,0,1] op_sel_hi:[1,0,0]
	v_pk_add_f32 v[0:1], v[86:87], v[92:93] neg_lo:[0,1] neg_hi:[0,1]
	v_mov_b32_e32 v73, v65
	s_waitcnt vmcnt(1)
	v_pk_mul_f32 v[64:65], v[60:61], v[32:33] op_sel:[0,1]
	v_pk_add_f32 v[110:111], v[106:107], v[72:73]
	v_pk_fma_f32 v[68:69], v[60:61], v[32:33], v[64:65] op_sel:[0,0,1] op_sel_hi:[1,1,0] neg_lo:[0,0,1] neg_hi:[0,0,1]
	v_pk_fma_f32 v[60:61], v[60:61], v[32:33], v[64:65] op_sel:[0,0,1] op_sel_hi:[1,0,0]
	v_pk_add_f32 v[64:65], v[102:103], v[104:105]
	v_mov_b32_e32 v69, v61
	v_pk_add_f32 v[60:61], v[56:57], v[106:107]
	v_pk_fma_f32 v[56:57], v[110:111], 0.5, v[56:57] op_sel_hi:[1,0,1] neg_lo:[1,0,0] neg_hi:[1,0,0]
	v_pk_add_f32 v[110:111], v[104:105], v[68:69]
	v_pk_add_f32 v[64:65], v[64:65], v[68:69]
	v_pk_fma_f32 v[102:103], v[110:111], 0.5, v[102:103] op_sel_hi:[1,0,1] neg_lo:[1,0,0] neg_hi:[1,0,0]
	v_pk_add_f32 v[68:69], v[104:105], v[68:69] neg_lo:[0,1] neg_hi:[0,1]
	v_accvgpr_write_b32 a83, v1
	v_pk_add_f32 v[60:61], v[60:61], v[72:73]
	v_pk_add_f32 v[72:73], v[106:107], v[72:73] neg_lo:[0,1] neg_hi:[0,1]
	v_pk_fma_f32 v[104:105], v[68:69], s[0:1], v[102:103] op_sel:[0,0,1] op_sel_hi:[1,0,0]
	v_pk_fma_f32 v[68:69], v[68:69], s[0:1], v[102:103] op_sel:[0,0,1] op_sel_hi:[1,0,0] neg_lo:[1,0,0] neg_hi:[1,0,0]
	v_accvgpr_write_b32 a82, v0
	v_pk_mul_f32 v[72:73], v[72:73], s[0:1] op_sel_hi:[1,0]
	v_mov_b32_e32 v102, v104
	v_mov_b32_e32 v103, v69
	v_mul_f32_e32 v0, 0x3f5db3d7, v68
	v_mul_f32_e32 v1, 0xbf5db3d7, v105
	v_pk_add_f32 v[106:107], v[72:73], v[56:57] op_sel:[1,0] op_sel_hi:[0,1]
	v_pk_add_f32 v[56:57], v[56:57], v[72:73] op_sel:[0,1] op_sel_hi:[1,0] neg_lo:[0,1] neg_hi:[0,1]
	v_fmac_f32_e32 v0, 0.5, v105
	v_fmac_f32_e32 v1, 0.5, v68
	v_pk_mul_f32 v[68:69], v[102:103], 0.5 op_sel_hi:[1,0]
	v_pk_add_f32 v[108:109], v[60:61], v[64:65]
	v_mov_b32_e32 v72, v56
	v_mov_b32_e32 v73, v107
	v_add_f32_e32 v104, v106, v0
	v_add_f32_e32 v105, v57, v1
	v_pk_fma_f32 v[68:69], v[102:103], s[0:1], v[68:69] op_sel:[0,0,1] op_sel_hi:[1,1,0] neg_lo:[0,0,1] neg_hi:[0,0,1]
	v_sub_f32_e32 v56, v106, v0
	v_sub_f32_e32 v57, v57, v1
	v_pk_add_f32 v[60:61], v[60:61], v[64:65] neg_lo:[0,1] neg_hi:[0,1]
	v_pk_add_f32 v[102:103], v[72:73], v[68:69]
	ds_write_b64 v80, v[104:105] offset:2312
	ds_write_b64 v80, v[102:103] offset:4624
	;; [unrolled: 1-line block ×4, first 2 shown]
	v_pk_add_f32 v[56:57], v[72:73], v[68:69] neg_lo:[0,1] neg_hi:[0,1]
	ds_write_b64 v80, v[56:57] offset:11560
	v_pk_mul_f32 v[56:57], v[78:79], v[44:45] op_sel:[0,1]
	v_mov_b32_e32 v8, v47
	v_pk_fma_f32 v[60:61], v[78:79], v[44:45], v[56:57] op_sel:[0,0,1] op_sel_hi:[1,1,0] neg_lo:[0,0,1] neg_hi:[0,0,1]
	v_pk_fma_f32 v[56:57], v[78:79], v[44:45], v[56:57] op_sel:[0,0,1] op_sel_hi:[1,0,0]
	v_mov_b32_e32 v10, v43
	v_mov_b32_e32 v61, v57
	v_pk_mul_f32 v[56:57], v[74:75], v[8:9] op_sel_hi:[1,0]
	v_accvgpr_write_b32 a69, v19
	v_pk_fma_f32 v[64:65], v[74:75], v[46:47], v[56:57] op_sel:[0,0,1] op_sel_hi:[1,1,0] neg_lo:[0,0,1] neg_hi:[0,0,1]
	v_pk_fma_f32 v[56:57], v[74:75], v[46:47], v[56:57] op_sel:[0,0,1] op_sel_hi:[1,0,0]
	v_accvgpr_write_b32 a79, v23
	v_mov_b32_e32 v65, v57
	v_pk_mul_f32 v[56:57], v[70:71], v[40:41] op_sel:[0,1]
	v_accvgpr_write_b32 a85, v33
	v_pk_fma_f32 v[68:69], v[70:71], v[40:41], v[56:57] op_sel:[0,0,1] op_sel_hi:[1,1,0] neg_lo:[0,0,1] neg_hi:[0,0,1]
	v_pk_fma_f32 v[56:57], v[70:71], v[40:41], v[56:57] op_sel:[0,0,1] op_sel_hi:[1,0,0]
	s_waitcnt vmcnt(0)
	v_accvgpr_write_b32 a87, v3
	v_mov_b32_e32 v69, v57
	v_pk_mul_f32 v[56:57], v[66:67], v[10:11] op_sel_hi:[1,0]
	v_accvgpr_write_b32 a90, v49
	v_pk_fma_f32 v[70:71], v[66:67], v[42:43], v[56:57] op_sel:[0,0,1] op_sel_hi:[1,1,0] neg_lo:[0,0,1] neg_hi:[0,0,1]
	v_pk_fma_f32 v[56:57], v[66:67], v[42:43], v[56:57] op_sel:[0,0,1] op_sel_hi:[1,0,0]
	v_accvgpr_write_b32 a94, v53
	v_mov_b32_e32 v71, v57
	v_pk_mul_f32 v[56:57], v[62:63], v[2:3] op_sel:[0,1]
	v_accvgpr_write_b32 a102, v45
	v_pk_fma_f32 v[66:67], v[62:63], v[2:3], v[56:57] op_sel:[0,0,1] op_sel_hi:[1,1,0] neg_lo:[0,0,1] neg_hi:[0,0,1]
	v_pk_fma_f32 v[56:57], v[62:63], v[2:3], v[56:57] op_sel:[0,0,1] op_sel_hi:[1,0,0]
	v_pk_add_f32 v[62:63], v[60:61], v[68:69]
	v_mov_b32_e32 v67, v57
	v_pk_add_f32 v[56:57], v[58:59], v[64:65]
	v_pk_add_f32 v[62:63], v[62:63], v[66:67]
	;; [unrolled: 1-line block ×3, first 2 shown]
	v_accvgpr_write_b32 a100, v41
	v_pk_add_f32 v[72:73], v[56:57], v[62:63]
	ds_write2_b64 v80, v[108:109], v[72:73] offset1:102
	v_pk_add_f32 v[72:73], v[64:65], v[70:71]
	v_pk_add_f32 v[64:65], v[64:65], v[70:71] neg_lo:[0,1] neg_hi:[0,1]
	v_pk_fma_f32 v[58:59], v[72:73], 0.5, v[58:59] op_sel_hi:[1,0,1] neg_lo:[1,0,0] neg_hi:[1,0,0]
	v_pk_add_f32 v[72:73], v[68:69], v[66:67]
	v_pk_add_f32 v[66:67], v[68:69], v[66:67] neg_lo:[0,1] neg_hi:[0,1]
	v_pk_fma_f32 v[60:61], v[72:73], 0.5, v[60:61] op_sel_hi:[1,0,1] neg_lo:[1,0,0] neg_hi:[1,0,0]
	v_pk_mul_f32 v[64:65], v[64:65], s[0:1] op_sel_hi:[1,0]
	v_pk_fma_f32 v[68:69], v[66:67], s[0:1], v[60:61] op_sel:[0,0,1] op_sel_hi:[1,0,0]
	v_pk_fma_f32 v[60:61], v[66:67], s[0:1], v[60:61] op_sel:[0,0,1] op_sel_hi:[1,0,0] neg_lo:[1,0,0] neg_hi:[1,0,0]
	v_mov_b32_e32 v66, v68
	v_mov_b32_e32 v67, v61
	v_mul_f32_e32 v0, 0x3f5db3d7, v60
	v_mul_f32_e32 v1, 0xbf5db3d7, v69
	v_pk_add_f32 v[70:71], v[64:65], v[58:59] op_sel:[1,0] op_sel_hi:[0,1]
	v_pk_add_f32 v[58:59], v[58:59], v[64:65] op_sel:[0,1] op_sel_hi:[1,0] neg_lo:[0,1] neg_hi:[0,1]
	v_fmac_f32_e32 v0, 0.5, v69
	v_fmac_f32_e32 v1, 0.5, v60
	v_pk_mul_f32 v[60:61], v[66:67], 0.5 op_sel_hi:[1,0]
	v_mov_b32_e32 v64, v58
	v_mov_b32_e32 v65, v71
	v_add_f32_e32 v68, v70, v0
	v_add_f32_e32 v69, v59, v1
	v_pk_fma_f32 v[60:61], v[66:67], s[0:1], v[60:61] op_sel:[0,0,1] op_sel_hi:[1,1,0] neg_lo:[0,0,1] neg_hi:[0,0,1]
	v_pk_add_f32 v[56:57], v[56:57], v[62:63] neg_lo:[0,1] neg_hi:[0,1]
	v_accvgpr_write_b32 a68, v18
	v_accvgpr_write_b32 a67, v17
	;; [unrolled: 1-line block ×12, first 2 shown]
	v_pk_add_f32 v[66:67], v[64:65], v[60:61]
	v_sub_f32_e32 v58, v70, v0
	v_sub_f32_e32 v59, v59, v1
	ds_write_b64 v80, v[68:69] offset:3128
	ds_write_b64 v80, v[66:67] offset:5440
	;; [unrolled: 1-line block ×4, first 2 shown]
	v_pk_add_f32 v[56:57], v[64:65], v[60:61] neg_lo:[0,1] neg_hi:[0,1]
	ds_write_b64 v80, v[56:57] offset:12376
	s_and_saveexec_b64 s[0:1], vcc
	s_cbranch_execz .LBB0_5
; %bb.4:
	v_mul_f32_e32 v0, 0x3f5db3d7, v99
	v_mul_f32_e32 v1, 0x3f5db3d7, v100
	v_pk_add_f32 v[60:61], v[158:159], v[88:89]
	v_pk_add_f32 v[62:63], v[76:77], v[84:85]
	v_fma_f32 v0, v100, 0.5, -v0
	v_fmac_f32_e32 v1, 0.5, v99
	v_pk_add_f32 v[60:61], v[60:61], v[90:91]
	v_pk_add_f32 v[62:63], v[62:63], v[82:83]
	v_add_f32_e32 v59, v95, v0
	v_add_f32_e32 v58, v96, v1
	v_pk_add_f32 v[64:65], v[60:61], v[62:63] op_sel:[0,1] op_sel_hi:[1,0]
	ds_write_b64 v80, v[64:65] offset:1632
	ds_write_b64 v80, v[58:59] offset:3944
	v_pk_add_f32 v[58:59], v[86:87], v[92:93]
	ds_write_b64 v80, v[58:59] offset:6256
	v_pk_add_f32 v[58:59], v[60:61], v[62:63] op_sel:[0,1] op_sel_hi:[1,0] neg_lo:[0,1] neg_hi:[0,1]
	v_sub_f32_e32 v57, v95, v0
	v_sub_f32_e32 v56, v96, v1
	ds_write_b64 v80, v[58:59] offset:8568
	ds_write_b64 v80, v[56:57] offset:10880
	;; [unrolled: 1-line block ×3, first 2 shown]
.LBB0_5:
	s_or_b64 exec, exec, s[0:1]
	v_mov_b32_e32 v81, 0
	v_lshl_add_u64 v[60:61], s[8:9], 0, v[80:81]
	s_movk_i32 s0, 0x3000
	v_add_co_u32_e64 v56, s[0:1], s0, v60
	s_waitcnt lgkmcnt(0)
	s_nop 0
	v_addc_co_u32_e64 v57, s[0:1], 0, v61, s[0:1]
	s_barrier
	global_load_dwordx2 v[62:63], v[56:57], off offset:1584
	s_mov_b64 s[8:9], 0x3630
	v_lshl_add_u64 v[56:57], v[60:61], 0, s[8:9]
	global_load_dwordx2 v[66:67], v[56:57], off offset:816
	global_load_dwordx2 v[74:75], v[56:57], off offset:1632
	;; [unrolled: 1-line block ×4, first 2 shown]
	s_movk_i32 s0, 0x4000
	v_add_co_u32_e64 v58, s[0:1], s0, v60
	v_add_u32_e32 v4, 0x400, v80
	s_nop 0
	v_addc_co_u32_e64 v59, s[0:1], 0, v61, s[0:1]
	global_load_dwordx2 v[82:83], v[58:59], off offset:2384
	global_load_dwordx2 v[84:85], v[58:59], off offset:3200
	;; [unrolled: 1-line block ×4, first 2 shown]
	s_movk_i32 s0, 0x5000
	v_add_co_u32_e64 v56, s[0:1], s0, v60
	v_add_u32_e32 v2, 0x800, v80
	s_nop 0
	v_addc_co_u32_e64 v57, s[0:1], 0, v61, s[0:1]
	global_load_dwordx2 v[90:91], v[56:57], off offset:736
	global_load_dwordx2 v[92:93], v[56:57], off offset:1552
	;; [unrolled: 1-line block ×5, first 2 shown]
	s_movk_i32 s0, 0x6000
	v_add_co_u32_e64 v60, s[0:1], s0, v60
	ds_read2_b64 v[56:59], v80 offset1:102
	s_nop 0
	v_addc_co_u32_e64 v61, s[0:1], 0, v61, s[0:1]
	global_load_dwordx2 v[100:101], v[60:61], off offset:720
	global_load_dwordx2 v[102:103], v[60:61], off offset:1536
	;; [unrolled: 1-line block ×3, first 2 shown]
	v_add_u32_e32 v3, 0x1000, v80
	v_mov_b32_e32 v11, v4
	v_mov_b32_e32 v8, v2
	;; [unrolled: 1-line block ×3, first 2 shown]
	v_add_u32_e32 v81, 0x2800, v80
	s_mov_b32 s20, 0xbeb8f4ab
	s_mov_b32 s0, 0x3f6eb680
	;; [unrolled: 1-line block ×24, first 2 shown]
	v_mov_b32_e32 v43, v7
	v_accvgpr_write_b32 a89, v9
	v_accvgpr_write_b32 a97, v11
	;; [unrolled: 1-line block ×3, first 2 shown]
	s_mov_b32 s60, s16
	s_mov_b32 s61, s22
	;; [unrolled: 1-line block ×14, first 2 shown]
	v_mov_b32_e32 v53, v52
	v_mov_b32_e32 v55, v54
	;; [unrolled: 1-line block ×7, first 2 shown]
	s_waitcnt vmcnt(16) lgkmcnt(0)
	v_mul_f32_e32 v0, v57, v63
	v_mul_f32_e32 v61, v56, v63
	s_waitcnt vmcnt(15)
	v_mul_f32_e32 v1, v59, v67
	v_mul_f32_e32 v63, v58, v67
	v_fma_f32 v60, v56, v62, -v0
	v_fmac_f32_e32 v61, v57, v62
	v_fma_f32 v62, v58, v66, -v1
	v_fmac_f32_e32 v63, v59, v66
	ds_write2_b64 v80, v[60:61], v[62:63] offset1:102
	ds_read2_b64 v[56:59], v4 offset0:76 offset1:178
	ds_read2_b64 v[60:63], v2 offset0:152 offset1:254
	;; [unrolled: 1-line block ×3, first 2 shown]
	v_add_u32_e32 v0, 0x1800, v80
	ds_read2_b64 v[70:73], v0 offset0:48 offset1:150
	v_mov_b32_e32 v10, v0
	s_waitcnt vmcnt(14) lgkmcnt(3)
	v_mul_f32_e32 v0, v57, v75
	v_mul_f32_e32 v107, v56, v75
	s_waitcnt vmcnt(13)
	v_mul_f32_e32 v1, v59, v77
	v_mul_f32_e32 v75, v58, v77
	s_waitcnt vmcnt(12) lgkmcnt(2)
	v_mul_f32_e32 v2, v61, v79
	v_mul_f32_e32 v77, v60, v79
	s_waitcnt vmcnt(9)
	v_mul_f32_e32 v3, v63, v87
	v_mul_f32_e32 v79, v62, v87
	s_waitcnt lgkmcnt(1)
	v_mul_f32_e32 v4, v67, v83
	v_mul_f32_e32 v87, v66, v83
	;; [unrolled: 1-line block ×4, first 2 shown]
	v_fma_f32 v106, v56, v74, -v0
	v_fmac_f32_e32 v107, v57, v74
	v_fma_f32 v74, v58, v76, -v1
	v_fmac_f32_e32 v75, v59, v76
	;; [unrolled: 2-line block ×6, first 2 shown]
	ds_write2_b64 v11, v[106:107], v[74:75] offset0:76 offset1:178
	ds_write2_b64 v8, v[76:77], v[78:79] offset0:152 offset1:254
	;; [unrolled: 1-line block ×3, first 2 shown]
	v_add_u32_e32 v1, 0x1c00, v80
	ds_read2_b64 v[56:59], v1 offset0:124 offset1:226
	s_waitcnt vmcnt(8) lgkmcnt(4)
	v_mul_f32_e32 v6, v71, v89
	v_mul_f32_e32 v85, v70, v89
	s_waitcnt vmcnt(7)
	v_mul_f32_e32 v0, v73, v91
	v_mul_f32_e32 v61, v72, v91
	v_fma_f32 v84, v70, v88, -v6
	v_fmac_f32_e32 v85, v71, v88
	v_fma_f32 v60, v72, v90, -v0
	v_fmac_f32_e32 v61, v73, v90
	v_add_u32_e32 v2, 0x2400, v80
	ds_write2_b64 v10, v[84:85], v[60:61] offset0:48 offset1:150
	s_waitcnt vmcnt(6) lgkmcnt(1)
	v_mul_f32_e32 v0, v57, v93
	v_mul_f32_e32 v67, v56, v93
	ds_read2_b64 v[60:63], v2 offset0:72 offset1:174
	v_fma_f32 v66, v56, v92, -v0
	v_fmac_f32_e32 v67, v57, v92
	s_waitcnt vmcnt(5)
	v_mul_f32_e32 v0, v59, v95
	v_mul_f32_e32 v57, v58, v95
	v_fma_f32 v56, v58, v94, -v0
	v_fmac_f32_e32 v57, v59, v94
	ds_write2_b64 v1, v[66:67], v[56:57] offset0:124 offset1:226
	ds_read2_b64 v[56:59], v81 offset0:148 offset1:250
	s_waitcnt vmcnt(4) lgkmcnt(2)
	v_mul_f32_e32 v0, v61, v97
	v_mul_f32_e32 v67, v60, v97
	v_fma_f32 v66, v60, v96, -v0
	v_fmac_f32_e32 v67, v61, v96
	s_waitcnt vmcnt(3)
	v_mul_f32_e32 v0, v63, v99
	v_mul_f32_e32 v61, v62, v99
	v_fma_f32 v60, v62, v98, -v0
	v_fmac_f32_e32 v61, v63, v98
	ds_write2_b64 v2, v[66:67], v[60:61] offset0:72 offset1:174
	s_waitcnt vmcnt(2) lgkmcnt(1)
	v_mul_f32_e32 v0, v57, v101
	v_mul_f32_e32 v61, v56, v101
	v_fma_f32 v60, v56, v100, -v0
	v_fmac_f32_e32 v61, v57, v100
	ds_read_b64 v[56:57], v80 offset:13056
	s_waitcnt vmcnt(1)
	v_mul_f32_e32 v0, v59, v103
	v_mul_f32_e32 v63, v58, v103
	v_fma_f32 v62, v58, v102, -v0
	v_fmac_f32_e32 v63, v59, v102
	s_waitcnt vmcnt(0) lgkmcnt(0)
	v_mul_f32_e32 v0, v57, v105
	v_mul_f32_e32 v59, v56, v105
	v_fma_f32 v58, v56, v104, -v0
	v_fmac_f32_e32 v59, v57, v104
	ds_write2_b64 v81, v[60:61], v[62:63] offset0:148 offset1:250
	ds_write_b64 v80, v[58:59] offset:13056
	s_waitcnt lgkmcnt(0)
	s_barrier
	ds_read2_b64 v[56:59], v80 offset1:102
	ds_read2_b64 v[82:85], v9 offset0:100 offset1:202
	ds_read2_b64 v[66:69], v11 offset0:76 offset1:178
	;; [unrolled: 1-line block ×7, first 2 shown]
	s_waitcnt lgkmcnt(7)
	v_pk_add_f32 v[60:61], v[56:57], v[58:59]
	ds_read_b64 v[62:63], v80 offset:13056
	s_waitcnt lgkmcnt(6)
	v_pk_add_f32 v[60:61], v[60:61], v[66:67]
	s_waitcnt lgkmcnt(2)
	v_pk_add_f32 v[244:245], v[66:67], v[78:79] neg_lo:[0,1] neg_hi:[0,1]
	v_pk_add_f32 v[60:61], v[60:61], v[68:69]
	v_accvgpr_write_b32 a93, v1
	s_waitcnt lgkmcnt(1)
	v_pk_add_f32 v[60:61], v[60:61], v[98:99]
	s_waitcnt lgkmcnt(0)
	v_pk_add_f32 v[236:237], v[58:59], v[62:63] neg_lo:[0,1] neg_hi:[0,1]
	v_pk_add_f32 v[60:61], v[60:61], v[100:101]
	v_pk_add_f32 v[238:239], v[78:79], v[66:67]
	;; [unrolled: 1-line block ×3, first 2 shown]
	v_pk_mul_f32 v[66:67], v[244:245], s[34:35] op_sel_hi:[1,0]
	v_pk_add_f32 v[60:61], v[60:61], v[84:85]
	v_pk_fma_f32 v[70:71], v[238:239], s[8:9], v[66:67] op_sel:[0,0,1] op_sel_hi:[1,0,0]
	v_pk_add_f32 v[60:61], v[60:61], v[88:89]
	v_pk_fma_f32 v[66:67], v[238:239], s[8:9], v[66:67] op_sel:[0,0,1] op_sel_hi:[1,0,0] neg_lo:[0,0,1] neg_hi:[0,0,1]
	v_pk_add_f32 v[60:61], v[60:61], v[90:91]
	v_pk_add_f32 v[252:253], v[68:69], v[76:77] neg_lo:[0,1] neg_hi:[0,1]
	v_pk_add_f32 v[60:61], v[60:61], v[94:95]
	v_accvgpr_write_b32 a101, v71
	v_pk_add_f32 v[60:61], v[60:61], v[96:97]
	v_mov_b32_e32 v71, v67
	v_pk_add_f32 v[60:61], v[60:61], v[72:73]
	v_pk_add_f32 v[246:247], v[76:77], v[68:69]
	;; [unrolled: 1-line block ×3, first 2 shown]
	v_pk_mul_f32 v[68:69], v[252:253], s[40:41] op_sel_hi:[1,0]
	v_pk_add_f32 v[60:61], v[60:61], v[76:77]
	v_pk_add_f32 v[86:87], v[98:99], v[74:75] neg_lo:[0,1] neg_hi:[0,1]
	v_pk_add_f32 v[60:61], v[60:61], v[78:79]
	v_pk_add_f32 v[76:77], v[74:75], v[98:99]
	;; [unrolled: 1-line block ×4, first 2 shown]
	v_pk_mul_f32 v[58:59], v[236:237], s[20:21] op_sel_hi:[1,0]
	v_pk_add_f32 v[98:99], v[100:101], v[72:73] neg_lo:[0,1] neg_hi:[0,1]
	v_pk_fma_f32 v[0:1], v[60:61], s[0:1], v[58:59] op_sel:[0,0,1] op_sel_hi:[1,0,0]
	v_pk_fma_f32 v[62:63], v[60:61], s[0:1], v[58:59] op_sel:[0,0,1] op_sel_hi:[1,0,0] neg_lo:[0,0,1] neg_hi:[0,0,1]
	v_mov_b32_e32 v58, v0
	v_mov_b32_e32 v59, v63
	v_pk_add_f32 v[58:59], v[56:57], v[58:59]
	v_accvgpr_write_b32 a99, v1
	v_pk_add_f32 v[58:59], v[70:71], v[58:59]
	v_pk_fma_f32 v[0:1], v[246:247], s[44:45], v[68:69] op_sel:[0,0,1] op_sel_hi:[1,0,0]
	v_pk_fma_f32 v[70:71], v[246:247], s[44:45], v[68:69] op_sel:[0,0,1] op_sel_hi:[1,0,0] neg_lo:[0,0,1] neg_hi:[0,0,1]
	v_mov_b32_e32 v68, v0
	v_mov_b32_e32 v69, v71
	v_pk_add_f32 v[58:59], v[68:69], v[58:59]
	v_pk_mul_f32 v[68:69], v[86:87], s[30:31] op_sel_hi:[1,0]
	v_accvgpr_write_b32 a103, v1
	v_pk_fma_f32 v[0:1], v[76:77], s[10:11], v[68:69] op_sel:[0,0,1] op_sel_hi:[1,0,0]
	v_pk_fma_f32 v[74:75], v[76:77], s[10:11], v[68:69] op_sel:[0,0,1] op_sel_hi:[1,0,0] neg_lo:[0,0,1] neg_hi:[0,0,1]
	v_mov_b32_e32 v68, v0
	v_mov_b32_e32 v69, v75
	v_pk_add_f32 v[58:59], v[68:69], v[58:59]
	v_pk_add_f32 v[92:93], v[72:73], v[100:101]
	v_pk_mul_f32 v[68:69], v[98:99], s[24:25] op_sel_hi:[1,0]
	v_accvgpr_write_b32 a113, v1
	v_pk_fma_f32 v[0:1], v[92:93], s[12:13], v[68:69] op_sel:[0,0,1] op_sel_hi:[1,0,0]
	v_pk_fma_f32 v[158:159], v[92:93], s[12:13], v[68:69] op_sel:[0,0,1] op_sel_hi:[1,0,0] neg_lo:[0,0,1] neg_hi:[0,0,1]
	v_mov_b32_e32 v68, v0
	v_mov_b32_e32 v69, v159
	v_pk_add_f32 v[112:113], v[82:83], v[96:97] neg_lo:[0,1] neg_hi:[0,1]
	v_pk_add_f32 v[58:59], v[68:69], v[58:59]
	v_pk_add_f32 v[106:107], v[96:97], v[82:83]
	v_pk_mul_f32 v[68:69], v[112:113], s[22:23] op_sel_hi:[1,0]
	v_pk_add_f32 v[116:117], v[84:85], v[94:95] neg_lo:[0,1] neg_hi:[0,1]
	v_accvgpr_write_b32 a115, v1
	v_pk_fma_f32 v[0:1], v[106:107], s[16:17], v[68:69] op_sel:[0,0,1] op_sel_hi:[1,0,0]
	v_pk_fma_f32 v[162:163], v[106:107], s[16:17], v[68:69] op_sel:[0,0,1] op_sel_hi:[1,0,0] neg_lo:[0,0,1] neg_hi:[0,0,1]
	v_pk_add_f32 v[114:115], v[94:95], v[84:85]
	v_pk_mul_f32 v[82:83], v[116:117], s[28:29] op_sel_hi:[1,0]
	v_pk_add_f32 v[140:141], v[88:89], v[90:91] neg_lo:[0,1] neg_hi:[0,1]
	v_mov_b32_e32 v68, v0
	v_accvgpr_write_b32 a117, v1
	v_mov_b32_e32 v69, v163
	v_pk_fma_f32 v[0:1], v[114:115], s[14:15], v[82:83] op_sel:[0,0,1] op_sel_hi:[1,0,0]
	v_pk_fma_f32 v[166:167], v[114:115], s[14:15], v[82:83] op_sel:[0,0,1] op_sel_hi:[1,0,0] neg_lo:[0,0,1] neg_hi:[0,0,1]
	v_pk_add_f32 v[136:137], v[90:91], v[88:89]
	v_pk_mul_f32 v[84:85], v[140:141], s[26:27] op_sel_hi:[1,0]
	v_pk_add_f32 v[58:59], v[68:69], v[58:59]
	v_mov_b32_e32 v82, v0
	v_accvgpr_write_b32 a119, v1
	v_mov_b32_e32 v83, v167
	v_pk_fma_f32 v[0:1], v[136:137], s[18:19], v[84:85] op_sel:[0,0,1] op_sel_hi:[1,0,0]
	v_pk_fma_f32 v[170:171], v[136:137], s[18:19], v[84:85] op_sel:[0,0,1] op_sel_hi:[1,0,0] neg_lo:[0,0,1] neg_hi:[0,0,1]
	v_pk_add_f32 v[82:83], v[82:83], v[58:59]
	v_mov_b32_e32 v84, v0
	v_mov_b32_e32 v85, v171
	v_pk_add_f32 v[82:83], v[84:85], v[82:83]
	s_barrier
	ds_write2_b64 v7, v[102:103], v[82:83] offset1:1
	v_pk_mul_f32 v[82:83], v[236:237], s[34:35] op_sel_hi:[1,0]
	v_accvgpr_write_b32 a121, v1
	v_pk_fma_f32 v[0:1], v[60:61], s[8:9], v[82:83] op_sel:[0,0,1] op_sel_hi:[1,0,0]
	v_pk_fma_f32 v[174:175], v[60:61], s[8:9], v[82:83] op_sel:[0,0,1] op_sel_hi:[1,0,0] neg_lo:[0,0,1] neg_hi:[0,0,1]
	v_pk_mul_f32 v[84:85], v[244:245], s[30:31] op_sel_hi:[1,0]
	v_mov_b32_e32 v82, v0
	v_mov_b32_e32 v63, v1
	;; [unrolled: 1-line block ×3, first 2 shown]
	v_pk_fma_f32 v[0:1], v[238:239], s[10:11], v[84:85] op_sel:[0,0,1] op_sel_hi:[1,0,0]
	v_pk_fma_f32 v[178:179], v[238:239], s[10:11], v[84:85] op_sel:[0,0,1] op_sel_hi:[1,0,0] neg_lo:[0,0,1] neg_hi:[0,0,1]
	v_pk_add_f32 v[82:83], v[56:57], v[82:83]
	v_mov_b32_e32 v84, v0
	v_mov_b32_e32 v85, v179
	v_pk_add_f32 v[82:83], v[84:85], v[82:83]
	v_pk_mul_f32 v[84:85], v[252:253], s[22:23] op_sel_hi:[1,0]
	v_mov_b32_e32 v67, v1
	v_pk_fma_f32 v[0:1], v[246:247], s[16:17], v[84:85] op_sel:[0,0,1] op_sel_hi:[1,0,0]
	v_pk_fma_f32 v[182:183], v[246:247], s[16:17], v[84:85] op_sel:[0,0,1] op_sel_hi:[1,0,0] neg_lo:[0,0,1] neg_hi:[0,0,1]
	v_mov_b32_e32 v84, v0
	v_mov_b32_e32 v85, v183
	v_pk_add_f32 v[82:83], v[84:85], v[82:83]
	v_pk_mul_f32 v[84:85], v[86:87], s[26:27] op_sel_hi:[1,0]
	v_mov_b32_e32 v71, v1
	v_pk_fma_f32 v[0:1], v[76:77], s[18:19], v[84:85] op_sel:[0,0,1] op_sel_hi:[1,0,0]
	v_pk_fma_f32 v[186:187], v[76:77], s[18:19], v[84:85] op_sel:[0,0,1] op_sel_hi:[1,0,0] neg_lo:[0,0,1] neg_hi:[0,0,1]
	;; [unrolled: 7-line block ×7, first 2 shown]
	v_pk_mul_f32 v[88:89], v[244:245], s[22:23] op_sel_hi:[1,0]
	v_mov_b32_e32 v84, v0
	v_mov_b32_e32 v85, v207
	v_pk_fma_f32 v[208:209], v[238:239], s[16:17], v[88:89] op_sel:[0,0,1] op_sel_hi:[1,0,0]
	v_pk_fma_f32 v[210:211], v[238:239], s[16:17], v[88:89] op_sel:[0,0,1] op_sel_hi:[1,0,0] neg_lo:[0,0,1] neg_hi:[0,0,1]
	v_pk_add_f32 v[84:85], v[56:57], v[84:85]
	v_mov_b32_e32 v88, v208
	v_mov_b32_e32 v89, v211
	v_pk_add_f32 v[84:85], v[88:89], v[84:85]
	v_pk_mul_f32 v[88:89], v[252:253], s[54:55] op_sel_hi:[1,0]
	v_pk_mul_f32 v[212:213], v[244:245], s[46:47] op_sel_hi:[1,0]
	v_pk_fma_f32 v[204:205], v[246:247], s[18:19], v[88:89] op_sel:[0,0,1] op_sel_hi:[1,0,0]
	v_pk_fma_f32 v[214:215], v[246:247], s[18:19], v[88:89] op_sel:[0,0,1] op_sel_hi:[1,0,0] neg_lo:[0,0,1] neg_hi:[0,0,1]
	v_mov_b32_e32 v88, v204
	v_mov_b32_e32 v89, v215
	v_pk_add_f32 v[84:85], v[88:89], v[84:85]
	v_pk_mul_f32 v[88:89], v[86:87], s[46:47] op_sel_hi:[1,0]
	v_pk_fma_f32 v[176:177], v[238:239], s[12:13], v[212:213] op_sel:[0,0,1] op_sel_hi:[1,0,0]
	v_pk_fma_f32 v[200:201], v[76:77], s[12:13], v[88:89] op_sel:[0,0,1] op_sel_hi:[1,0,0]
	v_pk_fma_f32 v[218:219], v[76:77], s[12:13], v[88:89] op_sel:[0,0,1] op_sel_hi:[1,0,0] neg_lo:[0,0,1] neg_hi:[0,0,1]
	v_mov_b32_e32 v88, v200
	v_mov_b32_e32 v89, v219
	v_pk_add_f32 v[84:85], v[88:89], v[84:85]
	v_pk_mul_f32 v[88:89], v[98:99], s[42:43] op_sel_hi:[1,0]
	v_pk_fma_f32 v[212:213], v[238:239], s[12:13], v[212:213] op_sel:[0,0,1] op_sel_hi:[1,0,0] neg_lo:[0,0,1] neg_hi:[0,0,1]
	v_pk_fma_f32 v[152:153], v[92:93], s[8:9], v[88:89] op_sel:[0,0,1] op_sel_hi:[1,0,0]
	v_pk_fma_f32 v[222:223], v[92:93], s[8:9], v[88:89] op_sel:[0,0,1] op_sel_hi:[1,0,0] neg_lo:[0,0,1] neg_hi:[0,0,1]
	v_mov_b32_e32 v88, v152
	v_mov_b32_e32 v89, v223
	v_pk_add_f32 v[84:85], v[88:89], v[84:85]
	v_pk_mul_f32 v[88:89], v[112:113], s[20:21] op_sel_hi:[1,0]
	v_mov_b32_e32 v172, v176
	v_pk_fma_f32 v[78:79], v[106:107], s[0:1], v[88:89] op_sel:[0,0,1] op_sel_hi:[1,0,0]
	v_pk_fma_f32 v[226:227], v[106:107], s[0:1], v[88:89] op_sel:[0,0,1] op_sel_hi:[1,0,0] neg_lo:[0,0,1] neg_hi:[0,0,1]
	v_mov_b32_e32 v88, v78
	v_mov_b32_e32 v89, v227
	v_pk_add_f32 v[84:85], v[88:89], v[84:85]
	v_pk_mul_f32 v[88:89], v[116:117], s[30:31] op_sel_hi:[1,0]
	v_mov_b32_e32 v173, v213
	v_pk_fma_f32 v[72:73], v[114:115], s[10:11], v[88:89] op_sel:[0,0,1] op_sel_hi:[1,0,0]
	v_pk_fma_f32 v[230:231], v[114:115], s[10:11], v[88:89] op_sel:[0,0,1] op_sel_hi:[1,0,0] neg_lo:[0,0,1] neg_hi:[0,0,1]
	v_mov_b32_e32 v88, v72
	v_mov_b32_e32 v89, v231
	v_pk_add_f32 v[84:85], v[88:89], v[84:85]
	v_pk_mul_f32 v[88:89], v[140:141], s[28:29] op_sel_hi:[1,0]
	v_accvgpr_write_b32 a95, v2
	v_pk_fma_f32 v[68:69], v[136:137], s[14:15], v[88:89] op_sel:[0,0,1] op_sel_hi:[1,0,0]
	v_pk_fma_f32 v[234:235], v[136:137], s[14:15], v[88:89] op_sel:[0,0,1] op_sel_hi:[1,0,0] neg_lo:[0,0,1] neg_hi:[0,0,1]
	v_mov_b32_e32 v88, v68
	v_mov_b32_e32 v89, v235
	v_pk_add_f32 v[84:85], v[88:89], v[84:85]
	ds_write2_b64 v7, v[82:83], v[84:85] offset0:2 offset1:3
	v_pk_mul_f32 v[82:83], v[236:237], s[30:31] op_sel_hi:[1,0]
	v_pk_mul_f32 v[84:85], v[244:245], s[26:27] op_sel_hi:[1,0]
	v_pk_fma_f32 v[64:65], v[60:61], s[10:11], v[82:83] op_sel:[0,0,1] op_sel_hi:[1,0,0]
	v_pk_fma_f32 v[242:243], v[60:61], s[10:11], v[82:83] op_sel:[0,0,1] op_sel_hi:[1,0,0] neg_lo:[0,0,1] neg_hi:[0,0,1]
	v_mov_b32_e32 v82, v64
	v_mov_b32_e32 v83, v243
	v_pk_fma_f32 v[58:59], v[238:239], s[18:19], v[84:85] op_sel:[0,0,1] op_sel_hi:[1,0,0]
	v_pk_fma_f32 v[250:251], v[238:239], s[18:19], v[84:85] op_sel:[0,0,1] op_sel_hi:[1,0,0] neg_lo:[0,0,1] neg_hi:[0,0,1]
	v_pk_add_f32 v[82:83], v[56:57], v[82:83]
	v_mov_b32_e32 v84, v58
	v_mov_b32_e32 v85, v251
	v_pk_add_f32 v[82:83], v[84:85], v[82:83]
	v_pk_mul_f32 v[84:85], v[252:253], s[46:47] op_sel_hi:[1,0]
	v_mov_b32_e32 v175, v1
	v_pk_fma_f32 v[102:103], v[246:247], s[12:13], v[84:85] op_sel:[0,0,1] op_sel_hi:[1,0,0]
	v_pk_fma_f32 v[254:255], v[246:247], s[12:13], v[84:85] op_sel:[0,0,1] op_sel_hi:[1,0,0] neg_lo:[0,0,1] neg_hi:[0,0,1]
	v_mov_b32_e32 v84, v102
	v_mov_b32_e32 v85, v255
	v_pk_add_f32 v[88:89], v[84:85], v[82:83]
	v_pk_mul_f32 v[82:83], v[86:87], s[36:37] op_sel_hi:[1,0]
	v_mov_b32_e32 v213, v177
	v_pk_fma_f32 v[84:85], v[76:77], s[0:1], v[82:83] op_sel:[0,0,1] op_sel_hi:[1,0,0]
	v_pk_fma_f32 v[82:83], v[76:77], s[0:1], v[82:83] op_sel:[0,0,1] op_sel_hi:[1,0,0] neg_lo:[0,0,1] neg_hi:[0,0,1]
	v_mov_b32_e32 v90, v84
	v_mov_b32_e32 v91, v83
	v_pk_add_f32 v[94:95], v[90:91], v[88:89]
	v_pk_mul_f32 v[88:89], v[98:99], s[40:41] op_sel_hi:[1,0]
	v_accvgpr_write_b32 a37, v10
	v_pk_fma_f32 v[90:91], v[92:93], s[44:45], v[88:89] op_sel:[0,0,1] op_sel_hi:[1,0,0]
	v_pk_fma_f32 v[88:89], v[92:93], s[44:45], v[88:89] op_sel:[0,0,1] op_sel_hi:[1,0,0] neg_lo:[0,0,1] neg_hi:[0,0,1]
	v_mov_b32_e32 v96, v90
	v_mov_b32_e32 v97, v89
	v_pk_add_f32 v[100:101], v[96:97], v[94:95]
	v_pk_mul_f32 v[94:95], v[112:113], s[28:29] op_sel_hi:[1,0]
	v_mov_b32_e32 v243, v65
	v_pk_fma_f32 v[96:97], v[106:107], s[14:15], v[94:95] op_sel:[0,0,1] op_sel_hi:[1,0,0]
	v_pk_fma_f32 v[94:95], v[106:107], s[14:15], v[94:95] op_sel:[0,0,1] op_sel_hi:[1,0,0] neg_lo:[0,0,1] neg_hi:[0,0,1]
	v_mov_b32_e32 v104, v96
	v_mov_b32_e32 v105, v95
	v_pk_add_f32 v[108:109], v[104:105], v[100:101]
	v_pk_mul_f32 v[100:101], v[116:117], s[50:51] op_sel_hi:[1,0]
	v_mov_b32_e32 v251, v59
	;; [unrolled: 7-line block ×3, first 2 shown]
	v_pk_fma_f32 v[110:111], v[136:137], s[8:9], v[108:109] op_sel:[0,0,1] op_sel_hi:[1,0,0]
	v_pk_fma_f32 v[108:109], v[136:137], s[8:9], v[108:109] op_sel:[0,0,1] op_sel_hi:[1,0,0] neg_lo:[0,0,1] neg_hi:[0,0,1]
	v_mov_b32_e32 v120, v110
	v_mov_b32_e32 v121, v109
	v_pk_add_f32 v[154:155], v[120:121], v[118:119]
	v_pk_mul_f32 v[118:119], v[236:237], s[24:25] op_sel_hi:[1,0]
	v_pk_mul_f32 v[120:121], v[244:245], s[52:53] op_sel_hi:[1,0]
	v_pk_fma_f32 v[144:145], v[60:61], s[12:13], v[118:119] op_sel:[0,0,1] op_sel_hi:[1,0,0]
	v_pk_fma_f32 v[142:143], v[60:61], s[12:13], v[118:119] op_sel:[0,0,1] op_sel_hi:[1,0,0] neg_lo:[0,0,1] neg_hi:[0,0,1]
	v_mov_b32_e32 v118, v144
	v_mov_b32_e32 v119, v143
	v_pk_fma_f32 v[160:161], v[238:239], s[14:15], v[120:121] op_sel:[0,0,1] op_sel_hi:[1,0,0]
	v_pk_fma_f32 v[150:151], v[238:239], s[14:15], v[120:121] op_sel:[0,0,1] op_sel_hi:[1,0,0] neg_lo:[0,0,1] neg_hi:[0,0,1]
	v_pk_add_f32 v[118:119], v[56:57], v[118:119]
	v_mov_b32_e32 v120, v160
	v_mov_b32_e32 v121, v151
	v_pk_add_f32 v[118:119], v[120:121], v[118:119]
	v_pk_mul_f32 v[120:121], v[252:253], s[42:43] op_sel_hi:[1,0]
	v_mov_b32_e32 v143, v145
	v_pk_fma_f32 v[168:169], v[246:247], s[8:9], v[120:121] op_sel:[0,0,1] op_sel_hi:[1,0,0]
	v_pk_fma_f32 v[164:165], v[246:247], s[8:9], v[120:121] op_sel:[0,0,1] op_sel_hi:[1,0,0] neg_lo:[0,0,1] neg_hi:[0,0,1]
	v_mov_b32_e32 v120, v168
	v_mov_b32_e32 v121, v165
	v_pk_add_f32 v[118:119], v[120:121], v[118:119]
	v_pk_mul_f32 v[120:121], v[86:87], s[40:41] op_sel_hi:[1,0]
	v_mov_b32_e32 v151, v161
	v_pk_fma_f32 v[126:127], v[76:77], s[44:45], v[120:121] op_sel:[0,0,1] op_sel_hi:[1,0,0]
	v_pk_fma_f32 v[134:135], v[76:77], s[44:45], v[120:121] op_sel:[0,0,1] op_sel_hi:[1,0,0] neg_lo:[0,0,1] neg_hi:[0,0,1]
	;; [unrolled: 7-line block ×6, first 2 shown]
	v_mov_b32_e32 v128, v130
	v_mov_b32_e32 v129, v125
	v_pk_add_f32 v[128:129], v[128:129], v[156:157]
	ds_write2_b64 v7, v[154:155], v[128:129] offset0:4 offset1:5
	v_pk_mul_f32 v[128:129], v[236:237], s[22:23] op_sel_hi:[1,0]
	v_mov_b32_e32 v89, v91
	v_pk_fma_f32 v[154:155], v[60:61], s[16:17], v[128:129] op_sel:[0,0,1] op_sel_hi:[1,0,0]
	v_pk_fma_f32 v[128:129], v[60:61], s[16:17], v[128:129] op_sel:[0,0,1] op_sel_hi:[1,0,0] neg_lo:[0,0,1] neg_hi:[0,0,1]
	v_mov_b32_e32 v156, v154
	v_mov_b32_e32 v157, v129
	v_pk_add_f32 v[156:157], v[56:57], v[156:157]
	v_mov_b32_e32 v129, v155
	v_pk_add_f32 v[156:157], v[172:173], v[156:157]
	v_pk_mul_f32 v[172:173], v[252:253], s[20:21] op_sel_hi:[1,0]
	v_mov_b32_e32 v147, v149
	v_pk_fma_f32 v[184:185], v[246:247], s[0:1], v[172:173] op_sel:[0,0,1] op_sel_hi:[1,0,0]
	v_pk_fma_f32 v[172:173], v[246:247], s[0:1], v[172:173] op_sel:[0,0,1] op_sel_hi:[1,0,0] neg_lo:[0,0,1] neg_hi:[0,0,1]
	v_mov_b32_e32 v180, v184
	v_mov_b32_e32 v181, v173
	v_pk_add_f32 v[156:157], v[180:181], v[156:157]
	v_pk_mul_f32 v[180:181], v[86:87], s[28:29] op_sel_hi:[1,0]
	v_mov_b32_e32 v173, v185
	v_pk_fma_f32 v[192:193], v[76:77], s[14:15], v[180:181] op_sel:[0,0,1] op_sel_hi:[1,0,0]
	v_pk_fma_f32 v[180:181], v[76:77], s[14:15], v[180:181] op_sel:[0,0,1] op_sel_hi:[1,0,0] neg_lo:[0,0,1] neg_hi:[0,0,1]
	v_mov_b32_e32 v188, v192
	;; [unrolled: 7-line block ×9, first 2 shown]
	v_mov_b32_e32 v133, v3
	v_pk_add_f32 v[34:35], v[132:133], v[34:35]
	v_pk_mul_f32 v[132:133], v[86:87], s[50:51] op_sel_hi:[1,0]
	v_pk_add_f32 v[32:33], v[56:57], v[240:241]
	v_pk_fma_f32 v[12:13], v[76:77], s[16:17], v[132:133] op_sel:[0,0,1] op_sel_hi:[1,0,0]
	v_pk_fma_f32 v[14:15], v[76:77], s[16:17], v[132:133] op_sel:[0,0,1] op_sel_hi:[1,0,0] neg_lo:[0,0,1] neg_hi:[0,0,1]
	v_mov_b32_e32 v132, v12
	v_mov_b32_e32 v133, v15
	v_pk_add_f32 v[34:35], v[132:133], v[34:35]
	v_pk_mul_f32 v[132:133], v[98:99], s[20:21] op_sel_hi:[1,0]
	v_pk_add_f32 v[32:33], v[38:39], v[32:33]
	v_pk_fma_f32 v[16:17], v[92:93], s[0:1], v[132:133] op_sel:[0,0,1] op_sel_hi:[1,0,0]
	v_pk_fma_f32 v[18:19], v[92:93], s[0:1], v[132:133] op_sel:[0,0,1] op_sel_hi:[1,0,0] neg_lo:[0,0,1] neg_hi:[0,0,1]
	v_mov_b32_e32 v132, v16
	v_mov_b32_e32 v133, v19
	v_pk_add_f32 v[34:35], v[132:133], v[34:35]
	v_pk_mul_f32 v[132:133], v[112:113], s[26:27] op_sel_hi:[1,0]
	v_mov_b32_e32 v3, v1
	v_pk_fma_f32 v[4:5], v[106:107], s[18:19], v[132:133] op_sel:[0,0,1] op_sel_hi:[1,0,0]
	v_pk_fma_f32 v[6:7], v[106:107], s[18:19], v[132:133] op_sel:[0,0,1] op_sel_hi:[1,0,0] neg_lo:[0,0,1] neg_hi:[0,0,1]
	v_mov_b32_e32 v132, v4
	v_mov_b32_e32 v133, v7
	v_pk_add_f32 v[0:1], v[2:3], v[32:33]
	v_pk_add_f32 v[2:3], v[56:57], v[128:129]
	;; [unrolled: 1-line block ×3, first 2 shown]
	v_pk_mul_f32 v[132:133], v[116:117], s[42:43] op_sel_hi:[1,0]
	v_pk_add_f32 v[2:3], v[212:213], v[2:3]
	v_pk_fma_f32 v[8:9], v[114:115], s[8:9], v[132:133] op_sel:[0,0,1] op_sel_hi:[1,0,0]
	v_pk_fma_f32 v[10:11], v[114:115], s[8:9], v[132:133] op_sel:[0,0,1] op_sel_hi:[1,0,0] neg_lo:[0,0,1] neg_hi:[0,0,1]
	v_mov_b32_e32 v15, v13
	v_pk_add_f32 v[2:3], v[172:173], v[2:3]
	v_mov_b32_e32 v132, v8
	v_mov_b32_e32 v133, v11
	v_pk_add_f32 v[0:1], v[14:15], v[0:1]
	v_mov_b32_e32 v19, v17
	v_pk_add_f32 v[2:3], v[180:181], v[2:3]
	v_pk_add_f32 v[34:35], v[132:133], v[34:35]
	v_pk_mul_f32 v[132:133], v[140:141], s[24:25] op_sel_hi:[1,0]
	v_pk_add_f32 v[0:1], v[18:19], v[0:1]
	v_mov_b32_e32 v7, v5
	v_pk_add_f32 v[2:3], v[188:189], v[2:3]
	v_pk_fma_f32 v[20:21], v[136:137], s[12:13], v[132:133] op_sel:[0,0,1] op_sel_hi:[1,0,0]
	v_pk_fma_f32 v[22:23], v[136:137], s[12:13], v[132:133] op_sel:[0,0,1] op_sel_hi:[1,0,0] neg_lo:[0,0,1] neg_hi:[0,0,1]
	v_pk_add_f32 v[0:1], v[6:7], v[0:1]
	v_mov_b32_e32 v11, v9
	v_pk_add_f32 v[2:3], v[196:197], v[2:3]
	v_mov_b32_e32 v133, v23
	;; [unrolled: 2-line block ×3, first 2 shown]
	v_pk_add_f32 v[2:3], v[220:221], v[2:3]
	v_pk_add_f32 v[0:1], v[22:23], v[0:1]
	v_pk_add_f32 v[2:3], v[228:229], v[2:3]
	ds_write2_b64 v43, v[0:1], v[2:3] offset0:10 offset1:11
	v_pk_add_f32 v[0:1], v[56:57], v[142:143]
	v_pk_add_f32 v[2:3], v[56:57], v[242:243]
	v_mov_b32_e32 v132, v20
	v_pk_add_f32 v[0:1], v[150:151], v[0:1]
	v_pk_add_f32 v[2:3], v[250:251], v[2:3]
	v_pk_add_f32 v[34:35], v[132:133], v[34:35]
	v_pk_add_f32 v[0:1], v[164:165], v[0:1]
	v_pk_add_f32 v[2:3], v[254:255], v[2:3]
	ds_write2_b64 v43, v[156:157], v[34:35] offset0:6 offset1:7
	v_pk_mul_f32 v[34:35], v[236:237], s[26:27] op_sel_hi:[1,0]
	v_pk_add_f32 v[0:1], v[134:135], v[0:1]
	v_pk_add_f32 v[2:3], v[82:83], v[2:3]
	v_pk_fma_f32 v[132:133], v[60:61], s[18:19], v[34:35] op_sel:[0,0,1] op_sel_hi:[1,0,0]
	v_pk_fma_f32 v[34:35], v[60:61], s[18:19], v[34:35] op_sel:[0,0,1] op_sel_hi:[1,0,0] neg_lo:[0,0,1] neg_hi:[0,0,1]
	v_pk_mul_f32 v[60:61], v[244:245], s[36:37] op_sel_hi:[1,0]
	v_pk_add_f32 v[0:1], v[122:123], v[0:1]
	v_pk_add_f32 v[2:3], v[88:89], v[2:3]
	v_mov_b32_e32 v95, v97
	v_pk_fma_f32 v[156:157], v[238:239], s[0:1], v[60:61] op_sel:[0,0,1] op_sel_hi:[1,0,0]
	v_pk_fma_f32 v[60:61], v[238:239], s[0:1], v[60:61] op_sel:[0,0,1] op_sel_hi:[1,0,0] neg_lo:[0,0,1] neg_hi:[0,0,1]
	v_mov_b32_e32 v236, v132
	v_mov_b32_e32 v237, v35
	v_pk_add_f32 v[0:1], v[146:147], v[0:1]
	v_mov_b32_e32 v119, v121
	v_pk_add_f32 v[2:3], v[94:95], v[2:3]
	;; [unrolled: 2-line block ×3, first 2 shown]
	v_mov_b32_e32 v238, v156
	v_mov_b32_e32 v239, v61
	v_pk_add_f32 v[0:1], v[118:119], v[0:1]
	v_mov_b32_e32 v125, v131
	v_pk_add_f32 v[2:3], v[100:101], v[2:3]
	;; [unrolled: 2-line block ×3, first 2 shown]
	v_pk_mul_f32 v[238:239], v[252:253], s[28:29] op_sel_hi:[1,0]
	v_pk_add_f32 v[0:1], v[124:125], v[0:1]
	v_pk_add_f32 v[2:3], v[108:109], v[2:3]
	v_mov_b32_e32 v207, v175
	v_mov_b32_e32 v175, v63
	v_pk_fma_f32 v[244:245], v[246:247], s[14:15], v[238:239] op_sel:[0,0,1] op_sel_hi:[1,0,0]
	v_pk_fma_f32 v[238:239], v[246:247], s[14:15], v[238:239] op_sel:[0,0,1] op_sel_hi:[1,0,0] neg_lo:[0,0,1] neg_hi:[0,0,1]
	ds_write2_b64 v43, v[0:1], v[2:3] offset0:12 offset1:13
	v_pk_add_f32 v[0:1], v[56:57], v[206:207]
	v_mov_b32_e32 v211, v209
	v_pk_add_f32 v[2:3], v[56:57], v[174:175]
	v_mov_b32_e32 v179, v67
	v_mov_b32_e32 v246, v244
	;; [unrolled: 1-line block ×3, first 2 shown]
	v_pk_mul_f32 v[86:87], v[86:87], s[42:43] op_sel_hi:[1,0]
	v_pk_add_f32 v[0:1], v[210:211], v[0:1]
	v_mov_b32_e32 v215, v205
	v_pk_add_f32 v[2:3], v[178:179], v[2:3]
	v_mov_b32_e32 v183, v71
	v_pk_add_f32 v[236:237], v[246:247], v[236:237]
	v_pk_fma_f32 v[246:247], v[76:77], s[8:9], v[86:87] op_sel:[0,0,1] op_sel_hi:[1,0,0]
	v_pk_fma_f32 v[76:77], v[76:77], s[8:9], v[86:87] op_sel:[0,0,1] op_sel_hi:[1,0,0] neg_lo:[0,0,1] neg_hi:[0,0,1]
	v_pk_add_f32 v[0:1], v[214:215], v[0:1]
	v_mov_b32_e32 v219, v201
	v_pk_add_f32 v[2:3], v[182:183], v[2:3]
	v_mov_b32_e32 v187, v75
	v_mov_b32_e32 v86, v246
	;; [unrolled: 1-line block ×3, first 2 shown]
	v_pk_mul_f32 v[98:99], v[98:99], s[22:23] op_sel_hi:[1,0]
	v_pk_add_f32 v[0:1], v[218:219], v[0:1]
	v_mov_b32_e32 v223, v153
	v_pk_add_f32 v[2:3], v[186:187], v[2:3]
	v_mov_b32_e32 v191, v159
	v_pk_add_f32 v[86:87], v[86:87], v[236:237]
	v_pk_fma_f32 v[236:237], v[92:93], s[16:17], v[98:99] op_sel:[0,0,1] op_sel_hi:[1,0,0]
	v_pk_fma_f32 v[92:93], v[92:93], s[16:17], v[98:99] op_sel:[0,0,1] op_sel_hi:[1,0,0] neg_lo:[0,0,1] neg_hi:[0,0,1]
	v_pk_add_f32 v[0:1], v[222:223], v[0:1]
	v_mov_b32_e32 v227, v79
	v_pk_add_f32 v[2:3], v[190:191], v[2:3]
	v_mov_b32_e32 v195, v163
	v_mov_b32_e32 v98, v236
	;; [unrolled: 1-line block ×3, first 2 shown]
	v_pk_add_f32 v[0:1], v[226:227], v[0:1]
	v_mov_b32_e32 v231, v73
	v_pk_add_f32 v[2:3], v[194:195], v[2:3]
	v_mov_b32_e32 v199, v167
	v_pk_add_f32 v[86:87], v[98:99], v[86:87]
	v_pk_mul_f32 v[98:99], v[112:113], s[38:39] op_sel_hi:[1,0]
	v_pk_add_f32 v[0:1], v[230:231], v[0:1]
	v_mov_b32_e32 v235, v69
	v_pk_add_f32 v[2:3], v[198:199], v[2:3]
	v_mov_b32_e32 v203, v171
	v_pk_fma_f32 v[112:113], v[106:107], s[44:45], v[98:99] op_sel:[0,0,1] op_sel_hi:[1,0,0]
	v_pk_fma_f32 v[98:99], v[106:107], s[44:45], v[98:99] op_sel:[0,0,1] op_sel_hi:[1,0,0] neg_lo:[0,0,1] neg_hi:[0,0,1]
	v_mov_b32_e32 v35, v133
	v_pk_add_f32 v[0:1], v[234:235], v[0:1]
	v_pk_add_f32 v[2:3], v[202:203], v[2:3]
	v_accvgpr_read_b32 v63, a99
	v_mov_b32_e32 v106, v112
	v_mov_b32_e32 v107, v99
	;; [unrolled: 1-line block ×3, first 2 shown]
	v_pk_add_f32 v[34:35], v[56:57], v[34:35]
	ds_write2_b64 v43, v[0:1], v[2:3] offset0:14 offset1:15
	v_pk_add_f32 v[0:1], v[56:57], v[62:63]
	v_accvgpr_read_b32 v67, a101
	v_pk_add_f32 v[86:87], v[106:107], v[86:87]
	v_pk_mul_f32 v[106:107], v[116:117], s[24:25] op_sel_hi:[1,0]
	v_pk_add_f32 v[34:35], v[60:61], v[34:35]
	v_mov_b32_e32 v239, v245
	v_pk_add_f32 v[0:1], v[66:67], v[0:1]
	v_accvgpr_read_b32 v71, a103
	v_pk_fma_f32 v[116:117], v[114:115], s[12:13], v[106:107] op_sel:[0,0,1] op_sel_hi:[1,0,0]
	v_pk_fma_f32 v[106:107], v[114:115], s[12:13], v[106:107] op_sel:[0,0,1] op_sel_hi:[1,0,0] neg_lo:[0,0,1] neg_hi:[0,0,1]
	v_pk_add_f32 v[34:35], v[238:239], v[34:35]
	v_mov_b32_e32 v77, v247
	v_pk_add_f32 v[0:1], v[70:71], v[0:1]
	v_accvgpr_read_b32 v75, a113
	v_mov_b32_e32 v114, v116
	v_mov_b32_e32 v115, v107
	v_pk_add_f32 v[34:35], v[76:77], v[34:35]
	v_mov_b32_e32 v93, v237
	v_pk_add_f32 v[0:1], v[74:75], v[0:1]
	v_accvgpr_read_b32 v159, a115
	v_pk_add_f32 v[86:87], v[114:115], v[86:87]
	v_pk_mul_f32 v[114:115], v[140:141], s[48:49] op_sel_hi:[1,0]
	v_pk_add_f32 v[34:35], v[92:93], v[34:35]
	v_mov_b32_e32 v99, v113
	v_pk_add_f32 v[0:1], v[158:159], v[0:1]
	v_accvgpr_read_b32 v163, a117
	v_pk_fma_f32 v[140:141], v[136:137], s[10:11], v[114:115] op_sel:[0,0,1] op_sel_hi:[1,0,0]
	v_pk_fma_f32 v[114:115], v[136:137], s[10:11], v[114:115] op_sel:[0,0,1] op_sel_hi:[1,0,0] neg_lo:[0,0,1] neg_hi:[0,0,1]
	v_pk_add_f32 v[34:35], v[98:99], v[34:35]
	v_mov_b32_e32 v107, v117
	v_pk_add_f32 v[0:1], v[162:163], v[0:1]
	v_accvgpr_read_b32 v167, a119
	v_mov_b32_e32 v136, v140
	v_mov_b32_e32 v137, v115
	v_pk_add_f32 v[34:35], v[106:107], v[34:35]
	v_mov_b32_e32 v115, v141
	v_pk_add_f32 v[0:1], v[166:167], v[0:1]
	v_accvgpr_read_b32 v171, a121
	v_pk_add_f32 v[86:87], v[136:137], v[86:87]
	v_pk_add_f32 v[34:35], v[114:115], v[34:35]
	;; [unrolled: 1-line block ×3, first 2 shown]
	ds_write2_b64 v43, v[86:87], v[34:35] offset0:8 offset1:9
	ds_write_b64 v43, v[0:1] offset:128
	s_waitcnt lgkmcnt(0)
	s_barrier
	ds_read2_b64 v[56:59], v80 offset1:102
	v_accvgpr_read_b32 v2, a54
	v_accvgpr_read_b32 v3, a55
	v_mov_b32_e32 v0, v3
	v_accvgpr_read_b32 v5, a57
	s_waitcnt lgkmcnt(0)
	v_pk_mul_f32 v[0:1], v[0:1], v[58:59] op_sel:[0,1] op_sel_hi:[1,0]
	v_accvgpr_read_b32 v4, a56
	v_pk_fma_f32 v[62:63], v[2:3], v[58:59], v[0:1]
	v_accvgpr_read_b32 v0, a97
	ds_read2_b64 v[70:73], v0 offset0:76 offset1:178
	v_pk_mul_f32 v[0:1], v[2:3], v[58:59] op_sel:[0,1] op_sel_hi:[1,0]
	v_accvgpr_read_b32 v250, a91
	v_mov_b32_e32 v0, v1
	v_pk_fma_f32 v[58:59], v[2:3], v[58:59], v[0:1] op_sel:[0,1,0] op_sel_hi:[1,0,1] neg_lo:[0,0,1] neg_hi:[0,0,1]
	v_mov_b32_e32 v0, v5
	s_waitcnt lgkmcnt(0)
	v_pk_mul_f32 v[0:1], v[0:1], v[70:71] op_sel:[0,1] op_sel_hi:[1,0]
	ds_read2_b64 v[16:19], v250 offset0:152 offset1:254
	v_pk_fma_f32 v[8:9], v[4:5], v[70:71], v[0:1]
	v_pk_mul_f32 v[0:1], v[4:5], v[70:71] op_sel:[0,1] op_sel_hi:[1,0]
	v_accvgpr_read_b32 v243, a89
	v_mov_b32_e32 v0, v1
	v_pk_fma_f32 v[10:11], v[4:5], v[70:71], v[0:1] op_sel:[0,1,0] op_sel_hi:[1,0,1] neg_lo:[0,0,1] neg_hi:[0,0,1]
	v_accvgpr_read_b32 v2, a50
	v_accvgpr_read_b32 v3, a51
	v_mov_b32_e32 v0, v3
	v_pk_mul_f32 v[0:1], v[0:1], v[72:73] op_sel:[0,1] op_sel_hi:[1,0]
	v_accvgpr_read_b32 v5, a53
	v_pk_fma_f32 v[22:23], v[2:3], v[72:73], v[0:1]
	v_pk_mul_f32 v[0:1], v[2:3], v[72:73] op_sel:[0,1] op_sel_hi:[1,0]
	v_accvgpr_read_b32 v4, a52
	v_mov_b32_e32 v0, v1
	v_pk_fma_f32 v[32:33], v[2:3], v[72:73], v[0:1] op_sel:[0,1,0] op_sel_hi:[1,0,1] neg_lo:[0,0,1] neg_hi:[0,0,1]
	v_mov_b32_e32 v0, v5
	s_waitcnt lgkmcnt(0)
	v_pk_mul_f32 v[0:1], v[0:1], v[16:17] op_sel:[0,1] op_sel_hi:[1,0]
	ds_read2_b64 v[12:15], v243 offset0:100 offset1:202
	v_pk_fma_f32 v[34:35], v[4:5], v[16:17], v[0:1]
	v_pk_mul_f32 v[0:1], v[4:5], v[16:17] op_sel:[0,1] op_sel_hi:[1,0]
	v_accvgpr_read_b32 v75, a41
	v_mov_b32_e32 v0, v1
	v_pk_fma_f32 v[36:37], v[4:5], v[16:17], v[0:1] op_sel:[0,1,0] op_sel_hi:[1,0,1] neg_lo:[0,0,1] neg_hi:[0,0,1]
	v_accvgpr_read_b32 v2, a42
	v_accvgpr_read_b32 v3, a43
	v_mov_b32_e32 v0, v3
	v_pk_mul_f32 v[0:1], v[0:1], v[18:19] op_sel:[0,1] op_sel_hi:[1,0]
	v_accvgpr_read_b32 v5, a45
	v_pk_fma_f32 v[38:39], v[2:3], v[18:19], v[0:1]
	v_pk_mul_f32 v[0:1], v[2:3], v[18:19] op_sel:[0,1] op_sel_hi:[1,0]
	v_accvgpr_read_b32 v4, a44
	v_mov_b32_e32 v0, v1
	v_pk_fma_f32 v[76:77], v[2:3], v[18:19], v[0:1] op_sel:[0,1,0] op_sel_hi:[1,0,1] neg_lo:[0,0,1] neg_hi:[0,0,1]
	v_mov_b32_e32 v0, v5
	s_waitcnt lgkmcnt(0)
	v_pk_mul_f32 v[0:1], v[0:1], v[12:13] op_sel:[0,1] op_sel_hi:[1,0]
	v_accvgpr_read_b32 v73, a39
	v_pk_fma_f32 v[20:21], v[4:5], v[12:13], v[0:1]
	v_pk_mul_f32 v[0:1], v[4:5], v[12:13] op_sel:[0,1] op_sel_hi:[1,0]
	v_accvgpr_read_b32 v72, a38
	v_mov_b32_e32 v0, v1
	v_pk_fma_f32 v[64:65], v[4:5], v[12:13], v[0:1] op_sel:[0,1,0] op_sel_hi:[1,0,1] neg_lo:[0,0,1] neg_hi:[0,0,1]
	v_mov_b32_e32 v0, v73
	v_pk_mul_f32 v[0:1], v[0:1], v[14:15] op_sel:[0,1] op_sel_hi:[1,0]
	v_mov_b32_e32 v2, v57
	v_accvgpr_read_b32 v242, a37
	v_pk_fma_f32 v[70:71], v[72:73], v[14:15], v[0:1]
	v_pk_mul_f32 v[0:1], v[72:73], v[14:15] op_sel:[0,1] op_sel_hi:[1,0]
	v_pk_add_f32 v[2:3], v[2:3], v[58:59]
	ds_read2_b64 v[66:69], v242 offset0:48 offset1:150
	v_mov_b32_e32 v0, v1
	v_pk_add_f32 v[2:3], v[2:3], v[10:11]
	v_pk_fma_f32 v[78:79], v[72:73], v[14:15], v[0:1] op_sel:[0,1,0] op_sel_hi:[1,0,1] neg_lo:[0,0,1] neg_hi:[0,0,1]
	v_pk_add_f32 v[0:1], v[56:57], v[62:63]
	v_pk_add_f32 v[2:3], v[2:3], v[32:33]
	;; [unrolled: 1-line block ×6, first 2 shown]
	v_accvgpr_read_b32 v2, a62
	v_pk_add_f32 v[0:1], v[0:1], v[34:35]
	v_accvgpr_read_b32 v3, a63
	v_accvgpr_read_b32 v74, a40
	v_pk_add_f32 v[82:83], v[0:1], v[38:39]
	v_accvgpr_read_b32 v0, a93
	s_waitcnt lgkmcnt(0)
	v_pk_mul_f32 v[2:3], v[2:3], v[66:67]
	ds_read2_b64 v[4:7], v0 offset0:124 offset1:226
	v_pk_fma_f32 v[86:87], v[74:75], v[66:67], v[2:3] op_sel:[0,0,1] op_sel_hi:[1,1,0]
	v_pk_fma_f32 v[88:89], v[74:75], v[66:67], v[2:3] op_sel:[0,0,1] op_sel_hi:[1,1,0] neg_lo:[0,0,1] neg_hi:[0,0,1]
	v_accvgpr_read_b32 v2, a110
	v_accvgpr_read_b32 v3, a111
	;; [unrolled: 1-line block ×3, first 2 shown]
	v_pk_mul_f32 v[2:3], v[2:3], v[68:69]
	v_accvgpr_read_b32 v73, a47
	v_accvgpr_read_b32 v72, a46
	v_pk_fma_f32 v[92:93], v[72:73], v[68:69], v[2:3] op_sel:[0,0,1] op_sel_hi:[1,1,0]
	v_pk_fma_f32 v[94:95], v[72:73], v[68:69], v[2:3] op_sel:[0,0,1] op_sel_hi:[1,1,0] neg_lo:[0,0,1] neg_hi:[0,0,1]
	v_accvgpr_read_b32 v2, a70
	v_accvgpr_read_b32 v0, a95
	;; [unrolled: 1-line block ×3, first 2 shown]
	ds_read2_b64 v[12:15], v0 offset0:72 offset1:174
	ds_read2_b64 v[16:19], v81 offset0:148 offset1:250
	ds_read_b64 v[0:1], v80 offset:13056
	v_accvgpr_read_b32 v74, a48
	s_waitcnt lgkmcnt(3)
	v_pk_mul_f32 v[2:3], v[2:3], v[4:5]
	v_accvgpr_read_b32 v68, a72
	v_pk_fma_f32 v[72:73], v[74:75], v[4:5], v[2:3] op_sel:[0,0,1] op_sel_hi:[1,1,0]
	v_pk_fma_f32 v[4:5], v[74:75], v[4:5], v[2:3] op_sel:[0,0,1] op_sel_hi:[1,1,0] neg_lo:[0,0,1] neg_hi:[0,0,1]
	v_accvgpr_read_b32 v2, a108
	v_accvgpr_read_b32 v3, a109
	;; [unrolled: 1-line block ×4, first 2 shown]
	v_pk_mul_f32 v[2:3], v[2:3], v[6:7]
	v_accvgpr_read_b32 v102, a60
	v_accvgpr_read_b32 v101, a59
	v_accvgpr_read_b32 v100, a58
	s_waitcnt lgkmcnt(2)
	v_pk_mul_f32 v[68:69], v[68:69], v[12:13]
	v_pk_fma_f32 v[66:67], v[100:101], v[6:7], v[2:3] op_sel:[0,0,1] op_sel_hi:[1,1,0]
	v_pk_fma_f32 v[2:3], v[100:101], v[6:7], v[2:3] op_sel:[0,0,1] op_sel_hi:[1,1,0] neg_lo:[0,0,1] neg_hi:[0,0,1]
	v_pk_fma_f32 v[100:101], v[102:103], v[12:13], v[68:69] op_sel:[0,0,1] op_sel_hi:[1,1,0]
	v_pk_fma_f32 v[102:103], v[102:103], v[12:13], v[68:69] op_sel:[0,0,1] op_sel_hi:[1,1,0] neg_lo:[0,0,1] neg_hi:[0,0,1]
	v_accvgpr_read_b32 v68, a106
	v_accvgpr_read_b32 v69, a107
	v_pk_mul_f32 v[68:69], v[68:69], v[14:15]
	v_mov_b32_e32 v83, v84
	v_pk_fma_f32 v[104:105], v[24:25], v[14:15], v[68:69] op_sel:[0,0,1] op_sel_hi:[1,1,0]
	v_pk_fma_f32 v[24:25], v[24:25], v[14:15], v[68:69] op_sel:[0,0,1] op_sel_hi:[1,1,0] neg_lo:[0,0,1] neg_hi:[0,0,1]
	v_accvgpr_read_b32 v14, a64
	v_accvgpr_read_b32 v15, a65
	s_waitcnt lgkmcnt(1)
	v_pk_mul_f32 v[14:15], v[14:15], v[16:17]
	v_mov_b32_e32 v7, v3
	v_pk_fma_f32 v[108:109], v[26:27], v[16:17], v[14:15] op_sel:[0,0,1] op_sel_hi:[1,1,0]
	v_pk_fma_f32 v[26:27], v[26:27], v[16:17], v[14:15] op_sel:[0,0,1] op_sel_hi:[1,1,0] neg_lo:[0,0,1] neg_hi:[0,0,1]
	v_accvgpr_read_b32 v14, a104
	v_accvgpr_read_b32 v15, a105
	v_pk_mul_f32 v[14:15], v[14:15], v[18:19]
	v_pk_add_f32 v[130:131], v[64:65], v[2:3] op_sel:[0,1] neg_lo:[0,1] neg_hi:[0,1]
	v_pk_fma_f32 v[112:113], v[28:29], v[18:19], v[14:15] op_sel:[0,0,1] op_sel_hi:[1,1,0]
	v_pk_fma_f32 v[28:29], v[28:29], v[18:19], v[14:15] op_sel:[0,0,1] op_sel_hi:[1,1,0] neg_lo:[0,0,1] neg_hi:[0,0,1]
	v_accvgpr_read_b32 v14, a80
	v_accvgpr_read_b32 v15, a81
	s_waitcnt lgkmcnt(0)
	v_pk_mul_f32 v[14:15], v[14:15], v[0:1]
	v_pk_add_f32 v[16:17], v[70:71], v[72:73] neg_lo:[0,1] neg_hi:[0,1]
	v_pk_fma_f32 v[120:121], v[30:31], v[0:1], v[14:15] op_sel:[0,0,1] op_sel_hi:[1,1,0]
	v_pk_fma_f32 v[0:1], v[30:31], v[0:1], v[14:15] op_sel:[0,0,1] op_sel_hi:[1,1,0] neg_lo:[0,0,1] neg_hi:[0,0,1]
	v_pk_add_f32 v[14:15], v[20:21], v[66:67] neg_lo:[0,1] neg_hi:[0,1]
	v_mov_b32_e32 v121, v1
	v_pk_add_f32 v[0:1], v[20:21], v[66:67]
	v_mov_b32_e32 v21, v64
	v_mov_b32_e32 v1, v14
	v_pk_add_f32 v[14:15], v[64:65], v[2:3] op_sel_hi:[0,1]
	v_pk_add_f32 v[2:3], v[70:71], v[72:73]
	v_pk_add_f32 v[20:21], v[82:83], v[20:21]
	v_mov_b32_e32 v71, v78
	v_mov_b32_e32 v90, v86
	;; [unrolled: 1-line block ×3, first 2 shown]
	v_pk_add_f32 v[20:21], v[20:21], v[70:71]
	v_mov_b32_e32 v96, v92
	v_mov_b32_e32 v97, v95
	v_pk_add_f32 v[20:21], v[20:21], v[90:91]
	v_mov_b32_e32 v98, v72
	v_mov_b32_e32 v99, v5
	v_pk_add_f32 v[20:21], v[20:21], v[96:97]
	v_mov_b32_e32 v6, v66
	v_pk_add_f32 v[20:21], v[20:21], v[98:99]
	v_mov_b32_e32 v12, v100
	v_mov_b32_e32 v13, v103
	v_pk_add_f32 v[6:7], v[20:21], v[6:7]
	v_mov_b32_e32 v106, v104
	;; [unrolled: 3-line block ×4, first 2 shown]
	v_mov_b32_e32 v115, v29
	v_pk_add_f32 v[6:7], v[6:7], v[110:111]
	v_pk_add_f32 v[126:127], v[10:11], v[28:29] op_sel:[0,1] neg_lo:[0,1] neg_hi:[0,1]
	v_pk_add_f32 v[6:7], v[6:7], v[114:115]
	v_pk_add_f32 v[20:21], v[10:11], v[28:29] op_sel_hi:[0,1]
	v_pk_add_f32 v[30:31], v[6:7], v[120:121]
	v_pk_add_f32 v[6:7], v[8:9], v[112:113]
	v_pk_add_f32 v[8:9], v[8:9], v[112:113] neg_lo:[0,1] neg_hi:[0,1]
	v_pk_add_f32 v[10:11], v[22:23], v[108:109] neg_lo:[0,1] neg_hi:[0,1]
	v_mov_b32_e32 v7, v8
	v_pk_add_f32 v[8:9], v[22:23], v[108:109]
	v_mov_b32_e32 v14, v130
	v_mov_b32_e32 v3, v16
	v_pk_add_f32 v[132:133], v[78:79], v[4:5] op_sel:[0,1] neg_lo:[0,1] neg_hi:[0,1]
	v_pk_add_f32 v[18:19], v[78:79], v[4:5] op_sel_hi:[0,1]
	v_pk_add_f32 v[4:5], v[86:87], v[92:93]
	v_pk_add_f32 v[16:17], v[86:87], v[92:93] neg_lo:[0,1] neg_hi:[0,1]
	v_mov_b32_e32 v9, v10
	v_pk_add_f32 v[138:139], v[32:33], v[26:27] op_sel:[0,1] neg_lo:[0,1] neg_hi:[0,1]
	v_pk_add_f32 v[22:23], v[32:33], v[26:27] op_sel_hi:[0,1]
	v_pk_add_f32 v[10:11], v[34:35], v[104:105]
	v_pk_add_f32 v[12:13], v[34:35], v[104:105] neg_lo:[0,1] neg_hi:[0,1]
	s_mov_b32 s15, s28
	s_mov_b32 s23, s16
	v_pk_mul_f32 v[32:33], v[0:1], s[60:61]
	v_mov_b32_e32 v18, v132
	v_mov_b32_e32 v5, v16
	v_pk_add_f32 v[92:93], v[88:89], v[94:95] neg_lo:[0,1] neg_hi:[0,1]
	v_pk_add_f32 v[16:17], v[88:89], v[94:95]
	s_mov_b32 s19, s26
	v_mov_b32_e32 v11, v12
	v_pk_add_f32 v[148:149], v[36:37], v[24:25] op_sel:[0,1] neg_lo:[0,1] neg_hi:[0,1]
	v_pk_add_f32 v[24:25], v[36:37], v[24:25] op_sel_hi:[0,1]
	v_pk_add_f32 v[12:13], v[38:39], v[100:101]
	v_pk_add_f32 v[26:27], v[38:39], v[100:101] neg_lo:[0,1] neg_hi:[0,1]
	s_mov_b32 s29, s14
	v_pk_fma_f32 v[186:187], v[130:131], s[22:23], v[32:33] neg_lo:[1,0,0] neg_hi:[1,0,0]
	v_pk_fma_f32 v[150:151], v[14:15], s[22:23], v[32:33]
	v_pk_mul_f32 v[34:35], v[2:3], s[14:15]
	s_mov_b32 s9, s34
	v_pk_fma_f32 v[32:33], v[14:15], s[22:23], v[32:33] neg_lo:[0,0,1] neg_hi:[0,0,1]
	v_mov_b32_e32 v16, v93
	v_mov_b32_e32 v20, v126
	s_mov_b32 s27, s18
	v_mov_b32_e32 v24, v148
	v_mov_b32_e32 v13, v26
	v_pk_add_f32 v[142:143], v[76:77], v[102:103] op_sel:[0,1] neg_lo:[0,1] neg_hi:[0,1]
	v_pk_add_f32 v[26:27], v[76:77], v[102:103] op_sel_hi:[0,1]
	s_mov_b32 s45, s40
	v_mov_b32_e32 v187, v151
	v_pk_fma_f32 v[102:103], v[132:133], s[28:29], v[34:35] neg_lo:[1,0,0] neg_hi:[1,0,0]
	v_pk_fma_f32 v[152:153], v[18:19], s[28:29], v[34:35]
	v_pk_mul_f32 v[36:37], v[4:5], s[18:19]
	s_mov_b32 s35, s8
	v_pk_mul_f32 v[38:39], v[6:7], s[8:9]
	s_mov_b32 s31, s10
	v_pk_mul_f32 v[212:213], v[10:11], s[62:63]
	v_mov_b32_e32 v151, v33
	v_pk_fma_f32 v[32:33], v[18:19], s[28:29], v[34:35] neg_lo:[0,0,1] neg_hi:[0,0,1]
	v_mov_b32_e32 v22, v138
	v_mov_b32_e32 v26, v142
	s_mov_b32 s41, s44
	v_mov_b32_e32 v103, v153
	v_pk_fma_f32 v[76:77], v[92:93], s[26:27], v[36:37] op_sel:[1,0,0] neg_lo:[1,0,0] neg_hi:[1,0,0]
	v_pk_fma_f32 v[156:157], v[16:17], s[26:27], v[36:37]
	v_pk_fma_f32 v[88:89], v[126:127], s[34:35], v[38:39] neg_lo:[1,0,0] neg_hi:[1,0,0]
	v_pk_fma_f32 v[162:163], v[20:21], s[34:35], v[38:39]
	v_pk_mul_f32 v[210:211], v[8:9], s[44:45]
	v_pk_fma_f32 v[108:109], v[148:149], s[30:31], v[212:213] neg_lo:[1,0,0] neg_hi:[1,0,0]
	v_pk_fma_f32 v[180:181], v[24:25], s[30:31], v[212:213]
	s_mov_b32 s25, s12
	v_pk_mul_f32 v[214:215], v[12:13], s[64:65]
	v_mov_b32_e32 v153, v33
	v_pk_fma_f32 v[32:33], v[16:17], s[26:27], v[36:37] neg_lo:[0,0,1] neg_hi:[0,0,1]
	v_pk_fma_f32 v[34:35], v[20:21], s[34:35], v[38:39] neg_lo:[0,0,1] neg_hi:[0,0,1]
	;; [unrolled: 1-line block ×3, first 2 shown]
	v_pk_mul_f32 v[82:83], v[6:7], s[18:19]
	s_mov_b32 s13, s46
	v_mov_b32_e32 v77, v157
	v_mov_b32_e32 v89, v163
	v_pk_fma_f32 v[98:99], v[138:139], s[40:41], v[210:211] neg_lo:[1,0,0] neg_hi:[1,0,0]
	v_pk_fma_f32 v[164:165], v[22:23], s[40:41], v[210:211]
	v_mov_b32_e32 v109, v181
	v_pk_fma_f32 v[114:115], v[142:143], s[24:25], v[214:215] neg_lo:[1,0,0] neg_hi:[1,0,0]
	v_pk_fma_f32 v[190:191], v[26:27], s[24:25], v[214:215]
	v_pk_mul_f32 v[222:223], v[6:7], s[62:63]
	v_mov_b32_e32 v157, v33
	v_pk_mul_f32 v[32:33], v[6:7], s[60:61]
	v_mov_b32_e32 v163, v35
	v_pk_fma_f32 v[34:35], v[22:23], s[40:41], v[210:211] neg_lo:[0,0,1] neg_hi:[0,0,1]
	v_mov_b32_e32 v181, v37
	v_pk_fma_f32 v[36:37], v[26:27], s[24:25], v[214:215] neg_lo:[0,0,1] neg_hi:[0,0,1]
	s_mov_b32 s11, s48
	s_mov_b32 s1, s20
	v_pk_fma_f32 v[154:155], v[126:127], s[26:27], v[82:83] neg_lo:[1,0,0] neg_hi:[1,0,0]
	s_mov_b32 s47, s12
	v_pk_mul_f32 v[94:95], v[8:9], s[12:13]
	s_mov_b32 s37, s0
	v_pk_mul_f32 v[110:111], v[10:11], s[56:57]
	v_pk_mul_f32 v[174:175], v[10:11], s[44:45]
	v_mov_b32_e32 v99, v165
	v_mov_b32_e32 v115, v191
	v_pk_mul_f32 v[216:217], v[0:1], s[12:13]
	s_mov_b32 s39, s44
	v_pk_mul_f32 v[218:219], v[2:3], s[58:59]
	v_pk_fma_f32 v[140:141], v[126:127], s[30:31], v[222:223] neg_lo:[1,0,0] neg_hi:[1,0,0]
	v_pk_mul_f32 v[224:225], v[8:9], s[60:61]
	v_pk_mul_f32 v[226:227], v[10:11], s[18:19]
	v_pk_fma_f32 v[144:145], v[126:127], s[22:23], v[32:33] neg_lo:[1,0,0] neg_hi:[1,0,0]
	v_pk_fma_f32 v[126:127], v[20:21], s[22:23], v[32:33]
	s_mov_b32 s55, s18
	v_mov_b32_e32 v165, v35
	v_pk_mul_f32 v[34:35], v[8:9], s[66:67]
	v_mov_b32_e32 v191, v37
	v_pk_mul_f32 v[36:37], v[10:11], s[12:13]
	v_pk_fma_f32 v[32:33], v[20:21], s[22:23], v[32:33] neg_lo:[0,0,1] neg_hi:[0,0,1]
	s_mov_b32 s49, s10
	v_pk_mul_f32 v[124:125], v[0:1], s[10:11]
	s_mov_b32 s21, s0
	v_pk_fma_f32 v[158:159], v[138:139], s[46:47], v[94:95] neg_lo:[1,0,0] neg_hi:[1,0,0]
	v_pk_fma_f32 v[160:161], v[148:149], s[36:37], v[110:111] neg_lo:[1,0,0] neg_hi:[1,0,0]
	;; [unrolled: 1-line block ×3, first 2 shown]
	v_pk_mul_f32 v[204:205], v[0:1], s[14:15]
	s_mov_b32 s17, s50
	v_pk_fma_f32 v[106:107], v[130:131], s[46:47], v[216:217] neg_lo:[1,0,0] neg_hi:[1,0,0]
	v_pk_fma_f32 v[178:179], v[14:15], s[46:47], v[216:217]
	v_pk_fma_f32 v[112:113], v[132:133], s[38:39], v[218:219] neg_lo:[1,0,0] neg_hi:[1,0,0]
	v_pk_fma_f32 v[188:189], v[18:19], s[38:39], v[218:219]
	v_pk_mul_f32 v[220:221], v[4:5], s[56:57]
	v_pk_fma_f32 v[196:197], v[138:139], s[22:23], v[224:225] neg_lo:[1,0,0] neg_hi:[1,0,0]
	v_pk_fma_f32 v[200:201], v[148:149], s[26:27], v[226:227] neg_lo:[1,0,0] neg_hi:[1,0,0]
	s_mov_b32 s53, s14
	v_pk_mul_f32 v[228:229], v[12:13], s[68:69]
	v_pk_mul_f32 v[230:231], v[0:1], s[0:1]
	v_mov_b32_e32 v145, v127
	v_pk_fma_f32 v[210:211], v[138:139], s[54:55], v[34:35] neg_lo:[1,0,0] neg_hi:[1,0,0]
	v_pk_fma_f32 v[138:139], v[22:23], s[54:55], v[34:35]
	v_pk_fma_f32 v[38:39], v[148:149], s[46:47], v[36:37] neg_lo:[1,0,0] neg_hi:[1,0,0]
	v_pk_fma_f32 v[148:149], v[14:15], s[46:47], v[216:217] neg_lo:[0,0,1] neg_hi:[0,0,1]
	s_mov_b32 s66, s8
	s_mov_b32 s67, s42
	v_pk_fma_f32 v[212:213], v[18:19], s[38:39], v[218:219] neg_lo:[0,0,1] neg_hi:[0,0,1]
	v_mov_b32_e32 v127, v33
	v_pk_fma_f32 v[32:33], v[22:23], s[54:55], v[34:35] neg_lo:[0,0,1] neg_hi:[0,0,1]
	v_pk_fma_f32 v[66:67], v[130:131], s[48:49], v[124:125] neg_lo:[1,0,0] neg_hi:[1,0,0]
	v_pk_mul_f32 v[128:129], v[2:3], s[0:1]
	v_pk_mul_f32 v[136:137], v[12:13], s[44:45]
	;; [unrolled: 1-line block ×3, first 2 shown]
	v_pk_fma_f32 v[184:185], v[130:131], s[28:29], v[204:205] neg_lo:[1,0,0] neg_hi:[1,0,0]
	s_mov_b32 s51, s16
	v_pk_mul_f32 v[208:209], v[2:3], s[16:17]
	v_mov_b32_e32 v107, v179
	v_mov_b32_e32 v113, v189
	v_pk_fma_f32 v[116:117], v[92:93], s[36:37], v[220:221] op_sel:[1,0,0] neg_lo:[1,0,0] neg_hi:[1,0,0]
	v_pk_fma_f32 v[194:195], v[16:17], s[36:37], v[220:221]
	v_pk_fma_f32 v[84:85], v[20:21], s[30:31], v[222:223]
	v_pk_fma_f32 v[206:207], v[142:143], s[52:53], v[228:229] neg_lo:[1,0,0] neg_hi:[1,0,0]
	v_pk_fma_f32 v[104:105], v[26:27], s[52:53], v[228:229]
	v_pk_fma_f32 v[198:199], v[130:131], s[20:21], v[230:231] neg_lo:[1,0,0] neg_hi:[1,0,0]
	v_pk_mul_f32 v[130:131], v[2:3], s[62:63]
	v_mov_b32_e32 v211, v139
	v_mov_b32_e32 v179, v149
	v_pk_fma_f32 v[148:149], v[24:25], s[46:47], v[36:37]
	s_mov_b32 s43, s8
	v_mov_b32_e32 v189, v213
	v_pk_mul_f32 v[212:213], v[12:13], s[66:67]
	v_pk_fma_f32 v[214:215], v[16:17], s[36:37], v[220:221] neg_lo:[0,0,1] neg_hi:[0,0,1]
	v_pk_fma_f32 v[216:217], v[20:21], s[30:31], v[222:223] neg_lo:[0,0,1] neg_hi:[0,0,1]
	;; [unrolled: 1-line block ×3, first 2 shown]
	v_mov_b32_e32 v139, v33
	v_pk_fma_f32 v[32:33], v[24:25], s[46:47], v[36:37] neg_lo:[0,0,1] neg_hi:[0,0,1]
	v_pk_fma_f32 v[72:73], v[132:133], s[20:21], v[128:129] neg_lo:[1,0,0] neg_hi:[1,0,0]
	;; [unrolled: 1-line block ×5, first 2 shown]
	v_mov_b32_e32 v117, v195
	v_mov_b32_e32 v141, v85
	v_pk_fma_f32 v[86:87], v[22:23], s[22:23], v[224:225]
	v_mov_b32_e32 v207, v105
	v_pk_fma_f32 v[202:203], v[132:133], s[30:31], v[130:131] neg_lo:[1,0,0] neg_hi:[1,0,0]
	v_pk_mul_f32 v[132:133], v[4:5], s[14:15]
	v_mov_b32_e32 v39, v149
	v_pk_fma_f32 v[142:143], v[142:143], s[42:43], v[212:213] neg_lo:[1,0,0] neg_hi:[1,0,0]
	v_mov_b32_e32 v195, v215
	v_pk_fma_f32 v[214:215], v[26:27], s[42:43], v[212:213]
	v_mov_b32_e32 v85, v217
	v_pk_mul_f32 v[216:217], v[4:5], s[66:67]
	v_pk_fma_f32 v[218:219], v[22:23], s[22:23], v[224:225] neg_lo:[0,0,1] neg_hi:[0,0,1]
	v_mov_b32_e32 v105, v223
	v_pk_mul_f32 v[222:223], v[4:5], s[60:61]
	v_mov_b32_e32 v149, v33
	v_pk_fma_f32 v[32:33], v[26:27], s[42:43], v[212:213] neg_lo:[0,0,1] neg_hi:[0,0,1]
	v_pk_fma_f32 v[28:29], v[20:21], s[26:27], v[82:83]
	v_mov_b32_e32 v197, v87
	v_pk_fma_f32 v[96:97], v[14:15], s[20:21], v[230:231]
	v_pk_fma_f32 v[134:135], v[92:93], s[28:29], v[132:133] op_sel:[1,0,0] neg_lo:[1,0,0] neg_hi:[1,0,0]
	v_mov_b32_e32 v143, v215
	v_mov_b32_e32 v87, v219
	v_pk_fma_f32 v[218:219], v[92:93], s[42:43], v[216:217] op_sel:[1,0,0] neg_lo:[1,0,0] neg_hi:[1,0,0]
	v_pk_fma_f32 v[224:225], v[92:93], s[22:23], v[222:223] op_sel:[1,0,0] neg_lo:[1,0,0] neg_hi:[1,0,0]
	v_pk_fma_f32 v[92:93], v[14:15], s[20:21], v[230:231] neg_lo:[0,0,1] neg_hi:[0,0,1]
	v_mov_b32_e32 v215, v33
	v_pk_fma_f32 v[32:33], v[20:21], s[26:27], v[82:83] neg_lo:[0,0,1] neg_hi:[0,0,1]
	v_mov_b32_e32 v155, v29
	v_pk_fma_f32 v[64:65], v[22:23], s[46:47], v[94:95]
	v_mov_b32_e32 v199, v97
	v_pk_fma_f32 v[100:101], v[18:19], s[30:31], v[130:131]
	v_mov_b32_e32 v97, v93
	v_pk_fma_f32 v[92:93], v[18:19], s[30:31], v[130:131] neg_lo:[0,0,1] neg_hi:[0,0,1]
	v_mov_b32_e32 v29, v33
	v_pk_fma_f32 v[32:33], v[22:23], s[46:47], v[94:95] neg_lo:[0,0,1] neg_hi:[0,0,1]
	v_pk_fma_f32 v[68:69], v[14:15], s[48:49], v[124:125]
	v_mov_b32_e32 v159, v65
	v_pk_fma_f32 v[70:71], v[24:25], s[36:37], v[110:111]
	v_mov_b32_e32 v203, v101
	;; [unrolled: 2-line block ×3, first 2 shown]
	v_pk_fma_f32 v[92:93], v[16:17], s[28:29], v[132:133] neg_lo:[0,0,1] neg_hi:[0,0,1]
	v_mov_b32_e32 v65, v33
	v_pk_fma_f32 v[32:33], v[24:25], s[36:37], v[110:111] neg_lo:[0,0,1] neg_hi:[0,0,1]
	v_mov_b32_e32 v63, v58
	;; [unrolled: 2-line block ×3, first 2 shown]
	v_pk_fma_f32 v[74:75], v[18:19], s[20:21], v[128:129]
	v_mov_b32_e32 v161, v71
	v_pk_fma_f32 v[78:79], v[26:27], s[40:41], v[136:137]
	v_mov_b32_e32 v135, v147
	v_mov_b32_e32 v147, v93
	;; [unrolled: 1-line block ×3, first 2 shown]
	v_pk_fma_f32 v[32:33], v[26:27], s[40:41], v[136:137] neg_lo:[0,0,1] neg_hi:[0,0,1]
	v_pk_add_f32 v[82:83], v[62:63], v[120:121]
	v_pk_add_f32 v[92:93], v[62:63], v[120:121] neg_lo:[0,1] neg_hi:[0,1]
	v_mov_b32_e32 v69, v59
	v_pk_fma_f32 v[58:59], v[18:19], s[20:21], v[128:129] neg_lo:[0,0,1] neg_hi:[0,0,1]
	v_mov_b32_e32 v73, v75
	v_mov_b32_e32 v183, v79
	v_pk_fma_f32 v[118:119], v[14:15], s[28:29], v[204:205]
	v_mov_b32_e32 v79, v33
	v_pk_fma_f32 v[32:33], v[14:15], s[28:29], v[204:205] neg_lo:[0,0,1] neg_hi:[0,0,1]
	v_mov_b32_e32 v75, v59
	v_mov_b32_e32 v58, v82
	;; [unrolled: 1-line block ×4, first 2 shown]
	v_pk_fma_f32 v[122:123], v[18:19], s[50:51], v[208:209]
	v_pk_fma_f32 v[90:91], v[24:25], s[26:27], v[226:227]
	v_pk_fma_f32 v[220:221], v[24:25], s[26:27], v[226:227] neg_lo:[0,0,1] neg_hi:[0,0,1]
	v_mov_b32_e32 v119, v33
	v_pk_fma_f32 v[32:33], v[18:19], s[50:51], v[208:209] neg_lo:[0,0,1] neg_hi:[0,0,1]
	v_mov_b32_e32 v94, v93
	v_mov_b32_e32 v95, v83
	v_pk_mul_f32 v[110:111], v[58:59], s[62:63]
	v_mov_b32_e32 v193, v123
	v_mov_b32_e32 v201, v91
	;; [unrolled: 1-line block ×3, first 2 shown]
	v_pk_fma_f32 v[220:221], v[16:17], s[42:43], v[216:217]
	v_mov_b32_e32 v123, v33
	v_pk_fma_f32 v[32:33], v[16:17], s[42:43], v[216:217] neg_lo:[0,0,1] neg_hi:[0,0,1]
	v_pk_fma_f32 v[62:63], v[94:95], s[30:31], v[110:111] neg_lo:[1,0,0] neg_hi:[1,0,0]
	v_pk_fma_f32 v[120:121], v[94:95], s[30:31], v[110:111]
	v_mov_b32_e32 v219, v221
	v_mov_b32_e32 v221, v33
	v_pk_mul_f32 v[32:33], v[92:93], s[24:25] op_sel_hi:[1,0]
	v_mov_b32_e32 v63, v121
	v_pk_fma_f32 v[34:35], v[82:83], s[12:13], v[32:33] op_sel:[0,0,1] op_sel_hi:[1,0,0]
	v_pk_fma_f32 v[32:33], v[82:83], s[12:13], v[32:33] op_sel:[0,0,1] op_sel_hi:[1,0,0] neg_lo:[0,0,1] neg_hi:[0,0,1]
	v_pk_add_f32 v[62:63], v[56:57], v[62:63]
	v_mov_b32_e32 v36, v34
	v_mov_b32_e32 v37, v33
	;; [unrolled: 1-line block ×3, first 2 shown]
	v_pk_add_f32 v[34:35], v[154:155], v[62:63]
	v_pk_mul_f32 v[62:63], v[20:21], s[52:53]
	v_pk_add_f32 v[36:37], v[56:57], v[36:37]
	v_pk_fma_f32 v[124:125], v[6:7], s[68:69], v[62:63]
	v_pk_fma_f32 v[128:129], v[6:7], s[68:69], v[62:63] neg_lo:[1,0,0] neg_hi:[1,0,0]
	v_pk_fma_f32 v[62:63], v[6:7], s[68:69], v[62:63] neg_lo:[0,0,1] neg_hi:[0,0,1]
	v_mov_b32_e32 v128, v124
	v_pk_add_f32 v[36:37], v[128:129], v[36:37]
	v_pk_mul_f32 v[128:129], v[22:23], s[42:43]
	v_pk_add_f32 v[32:33], v[56:57], v[32:33]
	v_pk_fma_f32 v[130:131], v[8:9], s[66:67], v[128:129]
	v_pk_fma_f32 v[132:133], v[8:9], s[66:67], v[128:129] neg_lo:[1,0,0] neg_hi:[1,0,0]
	v_mov_b32_e32 v63, v125
	v_pk_fma_f32 v[172:173], v[24:25], s[40:41], v[174:175]
	v_mov_b32_e32 v132, v130
	v_pk_add_f32 v[32:33], v[62:63], v[32:33]
	v_pk_fma_f32 v[62:63], v[24:25], s[40:41], v[174:175] neg_lo:[0,0,1] neg_hi:[0,0,1]
	v_mov_b32_e32 v169, v173
	v_pk_fma_f32 v[170:171], v[26:27], s[26:27], v[176:177]
	v_pk_add_f32 v[36:37], v[132:133], v[36:37]
	v_mov_b32_e32 v173, v63
	v_pk_fma_f32 v[62:63], v[26:27], s[26:27], v[176:177] neg_lo:[0,0,1] neg_hi:[0,0,1]
	v_mov_b32_e32 v167, v171
	v_pk_add_f32 v[36:37], v[172:173], v[36:37]
	v_mov_b32_e32 v171, v63
	v_pk_add_f32 v[36:37], v[170:171], v[36:37]
	v_pk_fma_f32 v[128:129], v[8:9], s[66:67], v[128:129] neg_lo:[0,0,1] neg_hi:[0,0,1]
	v_pk_add_f32 v[36:37], v[68:69], v[36:37]
	v_mov_b32_e32 v129, v131
	v_pk_add_f32 v[36:37], v[74:75], v[36:37]
	v_pk_mul_f32 v[74:75], v[58:59], s[0:1]
	v_pk_add_f32 v[32:33], v[128:129], v[32:33]
	v_pk_fma_f32 v[62:63], v[94:95], s[20:21], v[74:75] neg_lo:[1,0,0] neg_hi:[1,0,0]
	v_pk_fma_f32 v[124:125], v[94:95], s[20:21], v[74:75]
	v_pk_add_f32 v[32:33], v[168:169], v[32:33]
	v_mov_b32_e32 v63, v125
	v_pk_add_f32 v[62:63], v[56:57], v[62:63]
	v_pk_add_f32 v[32:33], v[166:167], v[32:33]
	;; [unrolled: 1-line block ×3, first 2 shown]
	v_pk_fma_f32 v[226:227], v[16:17], s[22:23], v[222:223]
	v_pk_add_f32 v[62:63], v[98:99], v[62:63]
	v_pk_mul_f32 v[98:99], v[58:59], s[44:45]
	v_pk_add_f32 v[62:63], v[108:109], v[62:63]
	v_pk_add_f32 v[32:33], v[66:67], v[32:33]
	;; [unrolled: 1-line block ×3, first 2 shown]
	v_mov_b32_e32 v225, v227
	v_pk_add_f32 v[62:63], v[186:187], v[62:63]
	v_pk_add_f32 v[32:33], v[72:73], v[32:33]
	;; [unrolled: 1-line block ×3, first 2 shown]
	v_pk_fma_f32 v[102:103], v[94:95], s[40:41], v[98:99]
	v_pk_add_f32 v[62:63], v[76:77], v[62:63]
	v_pk_mul_f32 v[76:77], v[58:59], s[8:9]
	v_pk_fma_f32 v[58:59], v[94:95], s[40:41], v[98:99] neg_lo:[1,0,0] neg_hi:[1,0,0]
	v_accvgpr_read_b32 v81, a36
	v_mov_b32_e32 v59, v103
	v_pk_add_f32 v[58:59], v[56:57], v[58:59]
	s_nop 0
	v_pk_add_f32 v[58:59], v[144:145], v[58:59]
	s_barrier
	v_pk_add_f32 v[58:59], v[210:211], v[58:59]
	s_nop 0
	v_pk_add_f32 v[38:39], v[38:39], v[58:59]
	v_pk_add_f32 v[58:59], v[224:225], v[32:33]
	v_pk_fma_f32 v[32:33], v[94:95], s[20:21], v[74:75] neg_lo:[0,0,1] neg_hi:[0,0,1]
	v_pk_fma_f32 v[66:67], v[94:95], s[34:35], v[76:77] neg_lo:[1,0,0] neg_hi:[1,0,0]
	v_mov_b32_e32 v125, v33
	v_pk_add_f32 v[32:33], v[56:57], v[124:125]
	v_pk_fma_f32 v[88:89], v[94:95], s[34:35], v[76:77]
	v_pk_add_f32 v[32:33], v[162:163], v[32:33]
	v_mov_b32_e32 v67, v89
	v_pk_add_f32 v[32:33], v[164:165], v[32:33]
	v_pk_add_f32 v[66:67], v[56:57], v[66:67]
	;; [unrolled: 1-line block ×11, first 2 shown]
	ds_write2_b64 v81, v[30:31], v[32:33] offset1:17
	v_pk_fma_f32 v[30:31], v[94:95], s[34:35], v[76:77] neg_lo:[0,0,1] neg_hi:[0,0,1]
	v_pk_fma_f32 v[32:33], v[94:95], s[40:41], v[98:99] neg_lo:[0,0,1] neg_hi:[0,0,1]
	v_mov_b32_e32 v89, v31
	v_mov_b32_e32 v103, v33
	v_pk_add_f32 v[30:31], v[56:57], v[88:89]
	v_pk_add_f32 v[32:33], v[56:57], v[102:103]
	;; [unrolled: 1-line block ×16, first 2 shown]
	ds_write2_b64 v81, v[30:31], v[32:33] offset0:34 offset1:51
	v_pk_fma_f32 v[30:31], v[94:95], s[30:31], v[110:111] neg_lo:[0,0,1] neg_hi:[0,0,1]
	v_pk_add_f32 v[66:67], v[200:201], v[66:67]
	v_mov_b32_e32 v121, v31
	v_pk_add_f32 v[30:31], v[56:57], v[120:121]
	v_pk_add_f32 v[34:35], v[182:183], v[34:35]
	;; [unrolled: 1-line block ×8, first 2 shown]
	v_pk_mul_f32 v[106:107], v[92:93], s[22:23] op_sel_hi:[1,0]
	v_pk_add_f32 v[34:35], v[192:193], v[34:35]
	v_pk_add_f32 v[28:29], v[78:79], v[28:29]
	v_pk_mul_f32 v[64:65], v[20:21], s[46:47]
	v_pk_fma_f32 v[108:109], v[82:83], s[16:17], v[106:107] op_sel:[0,0,1] op_sel_hi:[1,0,0]
	v_pk_fma_f32 v[106:107], v[82:83], s[16:17], v[106:107] op_sel:[0,0,1] op_sel_hi:[1,0,0] neg_lo:[0,0,1] neg_hi:[0,0,1]
	v_pk_add_f32 v[68:69], v[218:219], v[34:35]
	v_pk_fma_f32 v[34:35], v[16:17], s[22:23], v[222:223] neg_lo:[0,0,1] neg_hi:[0,0,1]
	v_pk_add_f32 v[28:29], v[118:119], v[28:29]
	v_pk_fma_f32 v[70:71], v[6:7], s[12:13], v[64:65]
	v_pk_fma_f32 v[74:75], v[6:7], s[12:13], v[64:65] neg_lo:[1,0,0] neg_hi:[1,0,0]
	v_pk_mul_f32 v[76:77], v[22:23], s[20:21]
	v_mov_b32_e32 v110, v108
	v_mov_b32_e32 v111, v107
	;; [unrolled: 1-line block ×3, first 2 shown]
	v_pk_add_f32 v[28:29], v[122:123], v[28:29]
	v_mov_b32_e32 v74, v70
	v_pk_fma_f32 v[78:79], v[8:9], s[0:1], v[76:77]
	v_pk_fma_f32 v[84:85], v[8:9], s[0:1], v[76:77] neg_lo:[1,0,0] neg_hi:[1,0,0]
	v_pk_mul_f32 v[86:87], v[24:25], s[28:29]
	v_pk_add_f32 v[110:111], v[56:57], v[110:111]
	v_pk_add_f32 v[38:39], v[142:143], v[38:39]
	;; [unrolled: 1-line block ×4, first 2 shown]
	v_mov_b32_e32 v84, v78
	v_pk_fma_f32 v[88:89], v[10:11], s[14:15], v[86:87]
	v_pk_fma_f32 v[90:91], v[10:11], s[14:15], v[86:87] neg_lo:[1,0,0] neg_hi:[1,0,0]
	v_pk_mul_f32 v[94:95], v[26:27], s[48:49]
	v_pk_add_f32 v[74:75], v[74:75], v[110:111]
	v_pk_mul_f32 v[140:141], v[92:93], s[28:29] op_sel_hi:[1,0]
	v_pk_add_f32 v[66:67], v[112:113], v[66:67]
	v_pk_add_f32 v[38:39], v[198:199], v[38:39]
	ds_write2_b64 v81, v[28:29], v[34:35] offset0:68 offset1:85
	v_pk_mul_f32 v[28:29], v[14:15], s[34:35]
	v_mov_b32_e32 v90, v88
	v_pk_fma_f32 v[96:97], v[12:13], s[10:11], v[94:95]
	v_pk_fma_f32 v[98:99], v[12:13], s[10:11], v[94:95] neg_lo:[1,0,0] neg_hi:[1,0,0]
	v_pk_add_f32 v[74:75], v[84:85], v[74:75]
	v_pk_mul_f32 v[110:111], v[20:21], s[38:39]
	v_pk_fma_f32 v[142:143], v[82:83], s[14:15], v[140:141] op_sel:[0,0,1] op_sel_hi:[1,0,0]
	v_pk_fma_f32 v[140:141], v[82:83], s[14:15], v[140:141] op_sel:[0,0,1] op_sel_hi:[1,0,0] neg_lo:[0,0,1] neg_hi:[0,0,1]
	v_pk_add_f32 v[66:67], v[116:117], v[66:67]
	v_pk_add_f32 v[38:39], v[202:203], v[38:39]
	v_pk_fma_f32 v[30:31], v[0:1], s[8:9], v[28:29]
	v_pk_fma_f32 v[32:33], v[0:1], s[8:9], v[28:29] neg_lo:[1,0,0] neg_hi:[1,0,0]
	v_pk_mul_f32 v[34:35], v[18:19], s[26:27]
	v_mov_b32_e32 v98, v96
	v_pk_add_f32 v[74:75], v[90:91], v[74:75]
	v_pk_fma_f32 v[112:113], v[6:7], s[58:59], v[110:111]
	v_pk_fma_f32 v[114:115], v[6:7], s[58:59], v[110:111] neg_lo:[1,0,0] neg_hi:[1,0,0]
	v_pk_mul_f32 v[116:117], v[22:23], s[30:31]
	v_mov_b32_e32 v144, v142
	v_mov_b32_e32 v145, v141
	v_pk_add_f32 v[72:73], v[134:135], v[38:39]
	v_mov_b32_e32 v32, v30
	v_pk_fma_f32 v[36:37], v[2:3], s[18:19], v[34:35]
	v_pk_fma_f32 v[38:39], v[2:3], s[18:19], v[34:35] neg_lo:[1,0,0] neg_hi:[1,0,0]
	v_pk_add_f32 v[74:75], v[98:99], v[74:75]
	v_mov_b32_e32 v114, v112
	v_pk_fma_f32 v[118:119], v[8:9], s[62:63], v[116:117]
	v_pk_fma_f32 v[120:121], v[8:9], s[62:63], v[116:117] neg_lo:[1,0,0] neg_hi:[1,0,0]
	v_pk_mul_f32 v[122:123], v[24:25], s[50:51]
	v_pk_add_f32 v[144:145], v[56:57], v[144:145]
	v_mov_b32_e32 v38, v36
	v_pk_mul_f32 v[100:101], v[16:17], s[38:39]
	v_pk_add_f32 v[32:33], v[32:33], v[74:75]
	v_mov_b32_e32 v120, v118
	v_pk_fma_f32 v[124:125], v[10:11], s[16:17], v[122:123]
	v_pk_fma_f32 v[126:127], v[10:11], s[16:17], v[122:123] neg_lo:[1,0,0] neg_hi:[1,0,0]
	v_pk_mul_f32 v[128:129], v[26:27], s[20:21]
	v_pk_add_f32 v[114:115], v[114:115], v[144:145]
	v_pk_fma_f32 v[102:103], v[4:5], s[58:59], v[100:101]
	v_pk_fma_f32 v[104:105], v[4:5], s[58:59], v[100:101] neg_lo:[1,0,0] neg_hi:[1,0,0]
	v_pk_add_f32 v[32:33], v[38:39], v[32:33]
	v_pk_mul_f32 v[38:39], v[14:15], s[26:27]
	v_mov_b32_e32 v126, v124
	v_pk_fma_f32 v[130:131], v[12:13], s[0:1], v[128:129]
	v_pk_fma_f32 v[132:133], v[12:13], s[0:1], v[128:129] neg_lo:[1,0,0] neg_hi:[1,0,0]
	v_pk_add_f32 v[114:115], v[120:121], v[114:115]
	v_mov_b32_e32 v104, v102
	v_pk_fma_f32 v[74:75], v[0:1], s[18:19], v[38:39]
	v_pk_fma_f32 v[84:85], v[0:1], s[18:19], v[38:39] neg_lo:[1,0,0] neg_hi:[1,0,0]
	v_pk_mul_f32 v[90:91], v[18:19], s[42:43]
	v_mov_b32_e32 v132, v130
	v_pk_add_f32 v[114:115], v[126:127], v[114:115]
	v_pk_add_f32 v[32:33], v[104:105], v[32:33]
	v_mov_b32_e32 v84, v74
	v_pk_fma_f32 v[98:99], v[2:3], s[66:67], v[90:91]
	v_pk_fma_f32 v[104:105], v[2:3], s[66:67], v[90:91] neg_lo:[1,0,0] neg_hi:[1,0,0]
	v_pk_mul_f32 v[134:135], v[16:17], s[24:25]
	v_pk_add_f32 v[114:115], v[132:133], v[114:115]
	v_mov_b32_e32 v104, v98
	v_pk_fma_f32 v[136:137], v[4:5], s[64:65], v[134:135]
	v_pk_fma_f32 v[138:139], v[4:5], s[64:65], v[134:135] neg_lo:[1,0,0] neg_hi:[1,0,0]
	v_pk_add_f32 v[84:85], v[84:85], v[114:115]
	v_mov_b32_e32 v138, v136
	v_pk_add_f32 v[84:85], v[104:105], v[84:85]
	v_pk_mul_f32 v[92:93], v[92:93], s[26:27] op_sel_hi:[1,0]
	v_pk_add_f32 v[84:85], v[138:139], v[84:85]
	v_pk_mul_f32 v[14:15], v[14:15], s[38:39]
	v_pk_mul_f32 v[20:21], v[20:21], s[36:37]
	v_pk_fma_f32 v[156:157], v[82:83], s[18:19], v[92:93] op_sel:[0,0,1] op_sel_hi:[1,0,0]
	v_pk_fma_f32 v[82:83], v[82:83], s[18:19], v[92:93] op_sel:[0,0,1] op_sel_hi:[1,0,0] neg_lo:[0,0,1] neg_hi:[0,0,1]
	ds_write2_b64 v81, v[32:33], v[84:85] offset0:102 offset1:119
	v_pk_fma_f32 v[32:33], v[0:1], s[58:59], v[14:15]
	v_pk_fma_f32 v[84:85], v[0:1], s[58:59], v[14:15] neg_lo:[1,0,0] neg_hi:[1,0,0]
	v_pk_fma_f32 v[120:121], v[6:7], s[56:57], v[20:21]
	v_pk_fma_f32 v[126:127], v[6:7], s[56:57], v[20:21] neg_lo:[1,0,0] neg_hi:[1,0,0]
	v_pk_mul_f32 v[22:23], v[22:23], s[28:29]
	v_mov_b32_e32 v93, v83
	v_pk_fma_f32 v[14:15], v[0:1], s[58:59], v[14:15] neg_lo:[0,0,1] neg_hi:[0,0,1]
	v_pk_fma_f32 v[20:21], v[6:7], s[56:57], v[20:21] neg_lo:[0,0,1] neg_hi:[0,0,1]
	v_mov_b32_e32 v83, v157
	v_mov_b32_e32 v84, v32
	v_pk_fma_f32 v[132:133], v[8:9], s[14:15], v[22:23]
	v_pk_fma_f32 v[138:139], v[8:9], s[14:15], v[22:23] neg_lo:[1,0,0] neg_hi:[1,0,0]
	v_pk_mul_f32 v[24:25], v[24:25], s[42:43]
	v_mov_b32_e32 v15, v33
	v_mov_b32_e32 v21, v121
	v_pk_fma_f32 v[22:23], v[8:9], s[14:15], v[22:23] neg_lo:[0,0,1] neg_hi:[0,0,1]
	v_pk_add_f32 v[32:33], v[56:57], v[82:83]
	v_pk_fma_f32 v[144:145], v[10:11], s[66:67], v[24:25]
	v_pk_fma_f32 v[146:147], v[10:11], s[66:67], v[24:25] neg_lo:[1,0,0] neg_hi:[1,0,0]
	v_pk_mul_f32 v[26:27], v[26:27], s[22:23]
	v_mov_b32_e32 v92, v156
	v_mov_b32_e32 v23, v133
	v_pk_fma_f32 v[24:25], v[10:11], s[66:67], v[24:25] neg_lo:[0,0,1] neg_hi:[0,0,1]
	v_pk_add_f32 v[20:21], v[20:21], v[32:33]
	v_mov_b32_e32 v126, v120
	v_pk_fma_f32 v[148:149], v[12:13], s[60:61], v[26:27]
	v_pk_fma_f32 v[150:151], v[12:13], s[60:61], v[26:27] neg_lo:[1,0,0] neg_hi:[1,0,0]
	v_pk_add_f32 v[92:93], v[56:57], v[92:93]
	v_mov_b32_e32 v25, v145
	v_pk_fma_f32 v[26:27], v[12:13], s[60:61], v[26:27] neg_lo:[0,0,1] neg_hi:[0,0,1]
	v_pk_add_f32 v[20:21], v[22:23], v[20:21]
	v_pk_mul_f32 v[18:19], v[18:19], s[24:25]
	v_mov_b32_e32 v138, v132
	v_pk_add_f32 v[92:93], v[126:127], v[92:93]
	v_mov_b32_e32 v27, v149
	v_pk_add_f32 v[20:21], v[24:25], v[20:21]
	v_pk_fma_f32 v[104:105], v[2:3], s[64:65], v[18:19]
	v_pk_fma_f32 v[114:115], v[2:3], s[64:65], v[18:19] neg_lo:[1,0,0] neg_hi:[1,0,0]
	v_mov_b32_e32 v146, v144
	v_pk_add_f32 v[92:93], v[138:139], v[92:93]
	v_pk_fma_f32 v[18:19], v[2:3], s[64:65], v[18:19] neg_lo:[0,0,1] neg_hi:[0,0,1]
	v_pk_add_f32 v[20:21], v[26:27], v[20:21]
	v_mov_b32_e32 v150, v148
	v_pk_add_f32 v[92:93], v[146:147], v[92:93]
	v_mov_b32_e32 v19, v105
	v_pk_add_f32 v[14:15], v[14:15], v[20:21]
	v_pk_mul_f32 v[16:17], v[16:17], s[48:49]
	v_pk_add_f32 v[92:93], v[150:151], v[92:93]
	v_pk_add_f32 v[14:15], v[18:19], v[14:15]
	v_pk_fma_f32 v[18:19], v[6:7], s[58:59], v[110:111] neg_lo:[0,0,1] neg_hi:[0,0,1]
	v_mov_b32_e32 v141, v143
	v_mov_b32_e32 v114, v104
	v_pk_fma_f32 v[152:153], v[4:5], s[10:11], v[16:17]
	v_pk_fma_f32 v[154:155], v[4:5], s[10:11], v[16:17] neg_lo:[1,0,0] neg_hi:[1,0,0]
	v_pk_add_f32 v[84:85], v[84:85], v[92:93]
	v_pk_fma_f32 v[16:17], v[4:5], s[10:11], v[16:17] neg_lo:[0,0,1] neg_hi:[0,0,1]
	v_mov_b32_e32 v19, v113
	v_pk_fma_f32 v[20:21], v[8:9], s[62:63], v[116:117] neg_lo:[0,0,1] neg_hi:[0,0,1]
	v_pk_add_f32 v[32:33], v[56:57], v[140:141]
	v_mov_b32_e32 v154, v152
	v_pk_add_f32 v[84:85], v[114:115], v[84:85]
	v_mov_b32_e32 v17, v153
	v_mov_b32_e32 v21, v119
	v_pk_fma_f32 v[22:23], v[10:11], s[16:17], v[122:123] neg_lo:[0,0,1] neg_hi:[0,0,1]
	v_pk_add_f32 v[18:19], v[18:19], v[32:33]
	v_pk_add_f32 v[84:85], v[154:155], v[84:85]
	;; [unrolled: 1-line block ×3, first 2 shown]
	v_mov_b32_e32 v23, v125
	v_pk_fma_f32 v[24:25], v[12:13], s[0:1], v[128:129] neg_lo:[0,0,1] neg_hi:[0,0,1]
	v_pk_add_f32 v[18:19], v[20:21], v[18:19]
	ds_write2_b64 v81, v[84:85], v[14:15] offset0:136 offset1:153
	v_pk_fma_f32 v[14:15], v[0:1], s[18:19], v[38:39] neg_lo:[0,0,1] neg_hi:[0,0,1]
	v_mov_b32_e32 v25, v131
	v_pk_add_f32 v[18:19], v[22:23], v[18:19]
	v_mov_b32_e32 v15, v75
	v_pk_fma_f32 v[16:17], v[2:3], s[66:67], v[90:91] neg_lo:[0,0,1] neg_hi:[0,0,1]
	v_pk_add_f32 v[18:19], v[24:25], v[18:19]
	v_mov_b32_e32 v17, v99
	v_pk_add_f32 v[14:15], v[14:15], v[18:19]
	v_pk_fma_f32 v[6:7], v[6:7], s[12:13], v[64:65] neg_lo:[0,0,1] neg_hi:[0,0,1]
	v_mov_b32_e32 v107, v109
	v_pk_add_f32 v[14:15], v[16:17], v[14:15]
	v_mov_b32_e32 v7, v71
	v_pk_fma_f32 v[8:9], v[8:9], s[0:1], v[76:77] neg_lo:[0,0,1] neg_hi:[0,0,1]
	v_pk_add_f32 v[16:17], v[56:57], v[106:107]
	v_mov_b32_e32 v9, v79
	v_pk_fma_f32 v[10:11], v[10:11], s[14:15], v[86:87] neg_lo:[0,0,1] neg_hi:[0,0,1]
	;; [unrolled: 3-line block ×3, first 2 shown]
	v_pk_add_f32 v[6:7], v[8:9], v[6:7]
	v_pk_fma_f32 v[0:1], v[0:1], s[8:9], v[28:29] neg_lo:[0,0,1] neg_hi:[0,0,1]
	v_mov_b32_e32 v13, v97
	v_pk_add_f32 v[6:7], v[10:11], v[6:7]
	v_mov_b32_e32 v1, v31
	v_pk_fma_f32 v[2:3], v[2:3], s[18:19], v[34:35] neg_lo:[0,0,1] neg_hi:[0,0,1]
	v_pk_add_f32 v[6:7], v[12:13], v[6:7]
	v_pk_fma_f32 v[26:27], v[4:5], s[64:65], v[134:135] neg_lo:[0,0,1] neg_hi:[0,0,1]
	v_mov_b32_e32 v3, v37
	v_pk_fma_f32 v[4:5], v[4:5], s[58:59], v[100:101] neg_lo:[0,0,1] neg_hi:[0,0,1]
	v_pk_add_f32 v[0:1], v[0:1], v[6:7]
	v_mov_b32_e32 v27, v137
	v_mov_b32_e32 v5, v103
	v_pk_add_f32 v[0:1], v[2:3], v[0:1]
	v_pk_add_f32 v[14:15], v[26:27], v[14:15]
	;; [unrolled: 1-line block ×3, first 2 shown]
	ds_write2_b64 v81, v[14:15], v[0:1] offset0:170 offset1:187
	ds_write2_b64 v81, v[58:59], v[68:69] offset0:204 offset1:221
	;; [unrolled: 1-line block ×3, first 2 shown]
	ds_write_b64 v81, v[62:63] offset:2176
	s_waitcnt lgkmcnt(0)
	s_barrier
	ds_read2_b64 v[0:3], v80 offset1:102
	ds_read2_b64 v[20:23], v250 offset0:33 offset1:135
	ds_read2_b64 v[16:19], v243 offset0:66 offset1:168
	ds_read2_b64 v[12:15], v242 offset0:99 offset1:201
	v_add_u32_e32 v4, 0x2000, v80
	ds_read2_b64 v[8:11], v4 offset0:132 offset1:234
	v_add_u32_e32 v4, 0x2c00, v80
	ds_read2_b64 v[4:7], v4 offset0:37 offset1:139
	v_accvgpr_read_b32 v233, a85
	v_accvgpr_read_b32 v70, a86
	;; [unrolled: 1-line block ×12, first 2 shown]
	v_mov_b32_e32 v60, v232
	v_mov_b32_e32 v61, v232
	;; [unrolled: 1-line block ×3, first 2 shown]
	v_accvgpr_read_b32 v248, a102
	v_accvgpr_read_b32 v249, a102
	;; [unrolled: 1-line block ×6, first 2 shown]
	v_mov_b32_e32 v43, v42
	v_accvgpr_read_b32 v64, a98
	v_accvgpr_read_b32 v65, a98
	v_mov_b32_e32 v24, v70
	v_mov_b32_e32 v25, v70
	;; [unrolled: 1-line block ×3, first 2 shown]
	s_and_saveexec_b64 s[0:1], vcc
	s_cbranch_execz .LBB0_7
; %bb.6:
	ds_read_b64 v[58:59], v80 offset:1632
	ds_read_b64 v[68:69], v80 offset:3944
	;; [unrolled: 1-line block ×6, first 2 shown]
.LBB0_7:
	s_or_b64 exec, exec, s[0:1]
	s_waitcnt lgkmcnt(4)
	v_pk_mul_f32 v[26:27], v[244:245], v[20:21]
	s_waitcnt lgkmcnt(3)
	v_pk_mul_f32 v[28:29], v[240:241], v[16:17]
	;; [unrolled: 2-line block ×3, first 2 shown]
	v_pk_fma_f32 v[74:75], v[52:53], v[20:21], v[26:27] op_sel:[0,0,1] op_sel_hi:[1,1,0]
	v_pk_fma_f32 v[20:21], v[52:53], v[20:21], v[26:27] op_sel:[0,0,1] op_sel_hi:[1,1,0] neg_lo:[0,0,1] neg_hi:[0,0,1]
	v_pk_fma_f32 v[26:27], v[54:55], v[16:17], v[28:29] op_sel:[0,0,1] op_sel_hi:[1,1,0]
	v_pk_fma_f32 v[16:17], v[54:55], v[16:17], v[28:29] op_sel:[0,0,1] op_sel_hi:[1,1,0] neg_lo:[0,0,1] neg_hi:[0,0,1]
	s_waitcnt lgkmcnt(1)
	v_pk_mul_f32 v[32:33], v[236:237], v[8:9]
	v_mov_b32_e32 v27, v17
	v_pk_fma_f32 v[16:17], v[48:49], v[12:13], v[30:31] op_sel:[0,0,1] op_sel_hi:[1,1,0]
	v_pk_fma_f32 v[12:13], v[48:49], v[12:13], v[30:31] op_sel:[0,0,1] op_sel_hi:[1,1,0] neg_lo:[0,0,1] neg_hi:[0,0,1]
	s_waitcnt lgkmcnt(0)
	v_pk_mul_f32 v[34:35], v[232:233], v[4:5]
	v_mov_b32_e32 v17, v13
	v_pk_fma_f32 v[12:13], v[50:51], v[8:9], v[32:33] op_sel:[0,0,1] op_sel_hi:[1,1,0]
	v_pk_fma_f32 v[8:9], v[50:51], v[8:9], v[32:33] op_sel:[0,0,1] op_sel_hi:[1,1,0] neg_lo:[0,0,1] neg_hi:[0,0,1]
	v_mov_b32_e32 v75, v21
	v_mov_b32_e32 v13, v9
	v_pk_fma_f32 v[8:9], v[60:61], v[4:5], v[34:35] op_sel:[0,0,1] op_sel_hi:[1,1,0]
	v_pk_fma_f32 v[4:5], v[60:61], v[4:5], v[34:35] op_sel:[0,0,1] op_sel_hi:[1,1,0] neg_lo:[0,0,1] neg_hi:[0,0,1]
	s_mov_b32 s8, 0.5
	v_mov_b32_e32 v9, v5
	v_pk_add_f32 v[28:29], v[16:17], v[8:9]
	v_pk_add_f32 v[4:5], v[0:1], v[26:27]
	v_mov_b32_e32 v20, v74
	v_pk_add_f32 v[30:31], v[16:17], v[8:9] neg_lo:[0,1] neg_hi:[0,1]
	s_mov_b32 s9, 0x3f5db3d7
	v_pk_add_f32 v[16:17], v[74:75], v[16:17]
	v_fmac_f32_e32 v21, -0.5, v29
	v_pk_add_f32 v[4:5], v[4:5], v[12:13]
	v_fmac_f32_e32 v20, -0.5, v28
	v_pk_add_f32 v[8:9], v[16:17], v[8:9]
	v_fmamk_f32 v16, v30, 0x3f5db3d7, v21
	v_pk_add_f32 v[32:33], v[26:27], v[12:13]
	v_pk_add_f32 v[12:13], v[26:27], v[12:13] neg_lo:[0,1] neg_hi:[0,1]
	s_mov_b32 s12, s9
	s_mov_b32 s10, s9
	;; [unrolled: 1-line block ×3, first 2 shown]
	v_fmamk_f32 v28, v31, 0xbf5db3d7, v20
	v_pk_fma_f32 v[0:1], v[32:33], 0.5, v[0:1] op_sel_hi:[1,0,1] neg_lo:[1,0,0] neg_hi:[1,0,0]
	v_pk_mul_f32 v[12:13], v[12:13], s[12:13] op_sel_hi:[1,0]
	v_pk_mul_f32 v[16:17], v[16:17], s[10:11] op_sel_hi:[0,1]
	v_pk_add_f32 v[26:27], v[0:1], v[12:13] op_sel:[0,1] op_sel_hi:[1,0] neg_lo:[0,1] neg_hi:[0,1]
	v_pk_add_f32 v[0:1], v[0:1], v[12:13] op_sel:[0,1] op_sel_hi:[1,0]
	v_pk_fma_f32 v[32:33], v[28:29], s[8:9], v[16:17] neg_lo:[0,0,1] neg_hi:[0,0,1]
	v_pk_fma_f32 v[16:17], v[28:29], s[8:9], v[16:17] op_sel_hi:[0,1,1]
	v_mov_b32_e32 v12, v26
	v_mov_b32_e32 v13, v1
	;; [unrolled: 1-line block ×3, first 2 shown]
	v_fmac_f32_e32 v21, 0xbf5db3d7, v30
	v_pk_add_f32 v[16:17], v[12:13], v[32:33]
	ds_write_b64 v80, v[16:17] offset:2312
	v_mov_b32_e32 v16, v21
	v_pk_mul_f32 v[38:39], v[246:247], v[18:19]
	s_mov_b32 s0, -0.5
	v_fmac_f32_e32 v20, 0x3f5db3d7, v31
	v_pk_add_f32 v[30:31], v[4:5], v[8:9]
	s_mov_b32 s1, s9
	v_pk_mul_f32 v[16:17], v[16:17], s[10:11] op_sel_hi:[0,1]
	v_pk_add_f32 v[4:5], v[4:5], v[8:9] neg_lo:[0,1] neg_hi:[0,1]
	v_pk_mul_f32 v[56:57], v[234:235], v[14:15]
	v_pk_fma_f32 v[16:17], v[20:21], s[0:1], v[16:17] op_sel_hi:[0,1,1] neg_lo:[0,0,1] neg_hi:[0,0,1]
	v_mov_b32_e32 v1, v27
	ds_write_b64 v80, v[4:5] offset:6936
	v_pk_add_f32 v[4:5], v[12:13], v[32:33] neg_lo:[0,1] neg_hi:[0,1]
	v_pk_fma_f32 v[8:9], v[46:47], v[18:19], v[38:39] op_sel:[0,0,1] op_sel_hi:[1,1,0]
	v_pk_fma_f32 v[12:13], v[46:47], v[18:19], v[38:39] op_sel:[0,0,1] op_sel_hi:[1,1,0] neg_lo:[0,0,1] neg_hi:[0,0,1]
	v_pk_mul_f32 v[36:37], v[248:249], v[22:23]
	v_pk_mul_f32 v[64:65], v[64:65], v[10:11]
	v_pk_add_f32 v[20:21], v[0:1], v[16:17]
	v_pk_add_f32 v[0:1], v[0:1], v[16:17] neg_lo:[0,1] neg_hi:[0,1]
	v_mov_b32_e32 v9, v13
	v_pk_fma_f32 v[12:13], v[40:41], v[14:15], v[56:57] op_sel:[0,0,1] op_sel_hi:[1,1,0]
	v_pk_fma_f32 v[14:15], v[40:41], v[14:15], v[56:57] op_sel:[0,0,1] op_sel_hi:[1,1,0] neg_lo:[0,0,1] neg_hi:[0,0,1]
	v_pk_mul_f32 v[70:71], v[70:71], v[6:7]
	ds_write_b64 v80, v[4:5] offset:9248
	ds_write_b64 v80, v[0:1] offset:11560
	v_pk_fma_f32 v[0:1], v[44:45], v[22:23], v[36:37] op_sel:[0,0,1] op_sel_hi:[1,1,0]
	v_pk_fma_f32 v[4:5], v[44:45], v[22:23], v[36:37] op_sel:[0,0,1] op_sel_hi:[1,1,0] neg_lo:[0,0,1] neg_hi:[0,0,1]
	v_mov_b32_e32 v13, v15
	v_pk_fma_f32 v[14:15], v[42:43], v[10:11], v[64:65] op_sel:[0,0,1] op_sel_hi:[1,1,0]
	v_pk_fma_f32 v[10:11], v[42:43], v[10:11], v[64:65] op_sel:[0,0,1] op_sel_hi:[1,1,0] neg_lo:[0,0,1] neg_hi:[0,0,1]
	v_mov_b32_e32 v1, v5
	v_mov_b32_e32 v15, v11
	v_pk_fma_f32 v[10:11], v[24:25], v[6:7], v[70:71] op_sel:[0,0,1] op_sel_hi:[1,1,0]
	v_pk_fma_f32 v[6:7], v[24:25], v[6:7], v[70:71] op_sel:[0,0,1] op_sel_hi:[1,1,0] neg_lo:[0,0,1] neg_hi:[0,0,1]
	v_mov_b32_e32 v4, v0
	v_mov_b32_e32 v11, v7
	v_pk_add_f32 v[6:7], v[2:3], v[8:9]
	v_pk_add_f32 v[0:1], v[0:1], v[12:13]
	;; [unrolled: 1-line block ×5, first 2 shown]
	v_pk_add_f32 v[18:19], v[12:13], v[10:11] neg_lo:[0,1] neg_hi:[0,1]
	v_fmac_f32_e32 v5, -0.5, v17
	v_pk_add_f32 v[12:13], v[6:7], v[0:1]
	ds_write_b64 v80, v[20:21] offset:4624
	v_fmac_f32_e32 v4, -0.5, v16
	v_fmamk_f32 v10, v18, 0x3f5db3d7, v5
	ds_write2_b64 v80, v[30:31], v[12:13] offset1:102
	v_pk_add_f32 v[12:13], v[8:9], v[14:15]
	v_pk_add_f32 v[8:9], v[8:9], v[14:15] neg_lo:[0,1] neg_hi:[0,1]
	v_fmamk_f32 v16, v19, 0xbf5db3d7, v4
	v_pk_fma_f32 v[2:3], v[12:13], 0.5, v[2:3] op_sel_hi:[1,0,1] neg_lo:[1,0,0] neg_hi:[1,0,0]
	v_pk_mul_f32 v[8:9], v[8:9], s[12:13] op_sel_hi:[1,0]
	v_pk_mul_f32 v[10:11], v[10:11], s[10:11] op_sel_hi:[0,1]
	v_pk_add_f32 v[12:13], v[2:3], v[8:9] op_sel:[0,1] op_sel_hi:[1,0] neg_lo:[0,1] neg_hi:[0,1]
	v_pk_add_f32 v[2:3], v[2:3], v[8:9] op_sel:[0,1] op_sel_hi:[1,0]
	v_pk_fma_f32 v[14:15], v[16:17], s[8:9], v[10:11] neg_lo:[0,0,1] neg_hi:[0,0,1]
	v_pk_fma_f32 v[10:11], v[16:17], s[8:9], v[10:11] op_sel_hi:[0,1,1]
	v_mov_b32_e32 v8, v12
	v_mov_b32_e32 v9, v3
	;; [unrolled: 1-line block ×3, first 2 shown]
	v_fmac_f32_e32 v5, 0xbf5db3d7, v18
	v_pk_add_f32 v[10:11], v[8:9], v[14:15]
	ds_write_b64 v80, v[10:11] offset:3128
	v_mov_b32_e32 v10, v5
	v_fmac_f32_e32 v4, 0x3f5db3d7, v19
	v_pk_mul_f32 v[10:11], v[10:11], s[10:11] op_sel_hi:[0,1]
	v_pk_add_f32 v[0:1], v[6:7], v[0:1] neg_lo:[0,1] neg_hi:[0,1]
	v_pk_fma_f32 v[4:5], v[4:5], s[0:1], v[10:11] op_sel_hi:[0,1,1] neg_lo:[0,0,1] neg_hi:[0,0,1]
	v_mov_b32_e32 v3, v13
	ds_write_b64 v80, v[0:1] offset:7752
	v_pk_add_f32 v[0:1], v[8:9], v[14:15] neg_lo:[0,1] neg_hi:[0,1]
	v_pk_add_f32 v[10:11], v[2:3], v[4:5]
	ds_write_b64 v80, v[0:1] offset:10064
	v_pk_add_f32 v[0:1], v[2:3], v[4:5] neg_lo:[0,1] neg_hi:[0,1]
	ds_write_b64 v80, v[10:11] offset:5440
	ds_write_b64 v80, v[0:1] offset:12376
	s_and_saveexec_b64 s[12:13], vcc
	s_cbranch_execz .LBB0_9
; %bb.8:
	v_accvgpr_read_b32 v14, a66
	v_accvgpr_read_b32 v16, a68
	;; [unrolled: 1-line block ×4, first 2 shown]
	v_pk_mul_f32 v[0:1], v[16:17], v[72:73] op_sel:[0,1]
	v_accvgpr_read_b32 v20, a78
	v_accvgpr_read_b32 v21, a79
	;; [unrolled: 1-line block ×3, first 2 shown]
	v_pk_mul_f32 v[2:3], v[20:21], v[62:63] op_sel:[0,1]
	v_accvgpr_read_b32 v12, a74
	v_accvgpr_read_b32 v22, a82
	v_pk_fma_f32 v[10:11], v[16:17], v[72:73], v[0:1] op_sel:[0,0,1] op_sel_hi:[1,1,0]
	v_pk_fma_f32 v[0:1], v[16:17], v[72:73], v[0:1] op_sel:[0,0,1] op_sel_hi:[1,0,0] neg_lo:[1,0,0] neg_hi:[1,0,0]
	v_pk_mul_f32 v[6:7], v[18:19], v[66:67] op_sel:[0,1]
	v_accvgpr_read_b32 v13, a75
	v_accvgpr_read_b32 v23, a83
	v_mov_b32_e32 v11, v1
	v_pk_fma_f32 v[0:1], v[20:21], v[62:63], v[2:3] op_sel:[0,0,1] op_sel_hi:[1,1,0]
	v_pk_fma_f32 v[2:3], v[20:21], v[62:63], v[2:3] op_sel:[0,0,1] op_sel_hi:[1,0,0] neg_lo:[1,0,0] neg_hi:[1,0,0]
	v_accvgpr_read_b32 v15, a67
	v_pk_mul_f32 v[8:9], v[12:13], v[22:23] op_sel:[0,1]
	v_mov_b32_e32 v1, v3
	v_pk_fma_f32 v[2:3], v[18:19], v[66:67], v[6:7] op_sel:[0,0,1] op_sel_hi:[1,1,0]
	v_pk_fma_f32 v[6:7], v[18:19], v[66:67], v[6:7] op_sel:[0,0,1] op_sel_hi:[1,0,0] neg_lo:[1,0,0] neg_hi:[1,0,0]
	v_pk_mul_f32 v[4:5], v[14:15], v[68:69] op_sel:[0,1]
	v_mov_b32_e32 v3, v7
	v_pk_fma_f32 v[6:7], v[12:13], v[22:23], v[8:9] op_sel:[0,0,1] op_sel_hi:[1,1,0]
	v_pk_fma_f32 v[8:9], v[12:13], v[22:23], v[8:9] op_sel:[0,0,1] op_sel_hi:[1,0,0] neg_lo:[1,0,0] neg_hi:[1,0,0]
	v_pk_fma_f32 v[12:13], v[14:15], v[68:69], v[4:5] op_sel:[0,0,1] op_sel_hi:[1,0,0]
	v_mov_b32_e32 v7, v9
	v_pk_fma_f32 v[4:5], v[14:15], v[68:69], v[4:5] op_sel:[0,0,1] op_sel_hi:[1,0,0] neg_lo:[1,0,0] neg_hi:[1,0,0]
	v_pk_add_f32 v[8:9], v[2:3], v[6:7]
	v_mov_b32_e32 v4, v12
	v_mov_b32_e32 v13, v5
	v_fmac_f32_e32 v4, -0.5, v8
	v_pk_add_f32 v[14:15], v[2:3], v[6:7] neg_lo:[0,1] neg_hi:[0,1]
	v_fmac_f32_e32 v5, -0.5, v9
	v_fmamk_f32 v8, v15, 0x3f5db3d7, v4
	v_fmamk_f32 v16, v14, 0xbf5db3d7, v5
	v_fmac_f32_e32 v4, 0xbf5db3d7, v15
	v_fmac_f32_e32 v5, 0x3f5db3d7, v14
	v_pk_add_f32 v[14:15], v[58:59], v[10:11]
	v_pk_add_f32 v[2:3], v[12:13], v[2:3]
	;; [unrolled: 1-line block ×4, first 2 shown]
	s_mov_b32 s14, s9
	v_pk_add_f32 v[6:7], v[14:15], v[2:3]
	ds_write_b64 v80, v[6:7] offset:1632
	v_pk_add_f32 v[6:7], v[10:11], v[0:1]
	v_pk_add_f32 v[0:1], v[10:11], v[0:1] neg_lo:[0,1] neg_hi:[0,1]
	v_pk_fma_f32 v[6:7], -0.5, v[6:7], v[58:59] op_sel_hi:[0,1,1]
	v_pk_mul_f32 v[0:1], v[0:1], s[14:15] op_sel_hi:[1,0]
	v_pk_add_f32 v[2:3], v[14:15], v[2:3] neg_lo:[0,1] neg_hi:[0,1]
	v_pk_add_f32 v[10:11], v[6:7], v[0:1] op_sel:[0,1] op_sel_hi:[1,0] neg_lo:[0,1] neg_hi:[0,1]
	v_pk_add_f32 v[0:1], v[6:7], v[0:1] op_sel:[0,1] op_sel_hi:[1,0]
	v_mov_b32_e32 v6, v10
	v_mov_b32_e32 v10, v5
	v_pk_mul_f32 v[12:13], v[10:11], s[10:11] op_sel_hi:[0,1]
	v_pk_fma_f32 v[18:19], v[4:5], s[8:9], v[12:13] neg_lo:[0,0,1] neg_hi:[0,0,1]
	v_pk_fma_f32 v[4:5], v[4:5], s[8:9], v[12:13] op_sel_hi:[0,1,1]
	v_mov_b32_e32 v7, v1
	v_mov_b32_e32 v19, v5
	v_pk_add_f32 v[4:5], v[6:7], v[18:19]
	ds_write_b64 v80, v[4:5] offset:3944
	v_pk_mul_f32 v[4:5], v[16:17], s[10:11] op_sel_hi:[0,1]
	v_pk_fma_f32 v[4:5], v[8:9], s[0:1], v[4:5] op_sel_hi:[0,1,1] neg_lo:[0,0,1] neg_hi:[0,0,1]
	v_mov_b32_e32 v1, v11
	v_pk_add_f32 v[8:9], v[0:1], v[4:5]
	ds_write_b64 v80, v[2:3] offset:8568
	v_pk_add_f32 v[2:3], v[6:7], v[18:19] neg_lo:[0,1] neg_hi:[0,1]
	v_pk_add_f32 v[0:1], v[0:1], v[4:5] neg_lo:[0,1] neg_hi:[0,1]
	ds_write_b64 v80, v[8:9] offset:6256
	ds_write_b64 v80, v[2:3] offset:10880
	;; [unrolled: 1-line block ×3, first 2 shown]
.LBB0_9:
	s_or_b64 exec, exec, s[12:13]
	v_accvgpr_read_b32 v10, a20
	s_waitcnt lgkmcnt(0)
	s_barrier
	ds_read2_b64 v[0:3], v80 offset1:102
	v_mad_u64_u32 v[6:7], s[0:1], s6, v10, 0
	v_mov_b32_e32 v8, v7
	v_mad_u64_u32 v[8:9], s[0:1], s7, v10, v[8:9]
	v_accvgpr_read_b32 v10, a34
	v_accvgpr_read_b32 v11, a35
	v_mov_b32_e32 v7, v8
	s_waitcnt lgkmcnt(0)
	v_mul_f32_e32 v8, v11, v1
	v_fmac_f32_e32 v8, v10, v0
	v_mul_f32_e32 v0, v11, v0
	s_mov_b32 s0, 0x8b5e3104
	v_fma_f32 v0, v10, v1, -v0
	v_cvt_f64_f32_e32 v[8:9], v8
	s_mov_b32 s1, 0x3f42e5b8
	v_cvt_f64_f32_e32 v[0:1], v0
	v_mul_f64 v[8:9], v[8:9], s[0:1]
	v_mul_f64 v[0:1], v[0:1], s[0:1]
	v_accvgpr_read_b32 v11, a21
	v_mov_b32_e32 v4, s2
	v_mov_b32_e32 v5, s3
	v_cvt_f32_f64_e32 v8, v[8:9]
	v_cvt_f32_f64_e32 v9, v[0:1]
	v_mad_u64_u32 v[0:1], s[2:3], s4, v11, 0
	v_mov_b32_e32 v10, v1
	v_mad_u64_u32 v[10:11], s[2:3], s5, v11, v[10:11]
	v_mov_b32_e32 v1, v10
	v_lshl_add_u64 v[4:5], v[6:7], 3, v[4:5]
	v_lshl_add_u64 v[4:5], v[0:1], 3, v[4:5]
	global_store_dwordx2 v[4:5], v[8:9], off
	v_accvgpr_read_b32 v8, a32
	v_accvgpr_read_b32 v9, a33
	v_mul_f32_e32 v0, v9, v3
	v_fmac_f32_e32 v0, v8, v2
	v_cvt_f64_f32_e32 v[0:1], v0
	v_mul_f64 v[0:1], v[0:1], s[0:1]
	v_cvt_f32_f64_e32 v6, v[0:1]
	v_mul_f32_e32 v0, v9, v2
	v_fma_f32 v0, v8, v3, -v0
	v_cvt_f64_f32_e32 v[0:1], v0
	v_mul_f64 v[0:1], v[0:1], s[0:1]
	v_cvt_f32_f64_e32 v7, v[0:1]
	v_add_u32_e32 v0, 0x400, v80
	ds_read2_b64 v[0:3], v0 offset0:76 offset1:178
	v_mov_b32_e32 v8, 0x330
	v_mad_u64_u32 v[4:5], s[2:3], s4, v8, v[4:5]
	s_mul_i32 s2, s5, 0x330
	v_accvgpr_read_b32 v10, a28
	v_add_u32_e32 v5, s2, v5
	v_accvgpr_read_b32 v11, a29
	global_store_dwordx2 v[4:5], v[6:7], off
	s_waitcnt lgkmcnt(0)
	v_mul_f32_e32 v6, v11, v1
	v_fmac_f32_e32 v6, v10, v0
	v_mul_f32_e32 v0, v11, v0
	v_fma_f32 v0, v10, v1, -v0
	v_cvt_f64_f32_e32 v[6:7], v6
	v_cvt_f64_f32_e32 v[0:1], v0
	v_accvgpr_read_b32 v10, a22
	v_mul_f64 v[6:7], v[6:7], s[0:1]
	v_mul_f64 v[0:1], v[0:1], s[0:1]
	v_accvgpr_read_b32 v11, a23
	v_cvt_f32_f64_e32 v6, v[6:7]
	v_cvt_f32_f64_e32 v7, v[0:1]
	v_mul_f32_e32 v0, v11, v3
	v_fmac_f32_e32 v0, v10, v2
	v_mad_u64_u32 v[4:5], s[6:7], s4, v8, v[4:5]
	v_cvt_f64_f32_e32 v[0:1], v0
	v_add_u32_e32 v5, s2, v5
	v_mul_f64 v[0:1], v[0:1], s[0:1]
	global_store_dwordx2 v[4:5], v[6:7], off
	v_cvt_f32_f64_e32 v6, v[0:1]
	v_mul_f32_e32 v0, v11, v2
	v_fma_f32 v0, v10, v3, -v0
	v_cvt_f64_f32_e32 v[0:1], v0
	v_mul_f64 v[0:1], v[0:1], s[0:1]
	v_cvt_f32_f64_e32 v7, v[0:1]
	v_add_u32_e32 v0, 0x800, v80
	ds_read2_b64 v[0:3], v0 offset0:152 offset1:254
	v_mad_u64_u32 v[4:5], s[6:7], s4, v8, v[4:5]
	v_accvgpr_read_b32 v10, a24
	v_add_u32_e32 v5, s2, v5
	v_accvgpr_read_b32 v11, a25
	global_store_dwordx2 v[4:5], v[6:7], off
	s_waitcnt lgkmcnt(0)
	v_mul_f32_e32 v6, v11, v1
	v_fmac_f32_e32 v6, v10, v0
	v_mul_f32_e32 v0, v11, v0
	v_fma_f32 v0, v10, v1, -v0
	v_cvt_f64_f32_e32 v[6:7], v6
	v_cvt_f64_f32_e32 v[0:1], v0
	v_accvgpr_read_b32 v10, a18
	v_mul_f64 v[6:7], v[6:7], s[0:1]
	v_mul_f64 v[0:1], v[0:1], s[0:1]
	v_accvgpr_read_b32 v11, a19
	v_cvt_f32_f64_e32 v6, v[6:7]
	v_cvt_f32_f64_e32 v7, v[0:1]
	v_mul_f32_e32 v0, v11, v3
	v_fmac_f32_e32 v0, v10, v2
	v_mad_u64_u32 v[4:5], s[6:7], s4, v8, v[4:5]
	v_cvt_f64_f32_e32 v[0:1], v0
	v_add_u32_e32 v5, s2, v5
	v_mul_f64 v[0:1], v[0:1], s[0:1]
	global_store_dwordx2 v[4:5], v[6:7], off
	v_cvt_f32_f64_e32 v6, v[0:1]
	v_mul_f32_e32 v0, v11, v2
	v_fma_f32 v0, v10, v3, -v0
	v_cvt_f64_f32_e32 v[0:1], v0
	v_mul_f64 v[0:1], v[0:1], s[0:1]
	v_cvt_f32_f64_e32 v7, v[0:1]
	v_add_u32_e32 v0, 0x1000, v80
	ds_read2_b64 v[0:3], v0 offset0:100 offset1:202
	v_mad_u64_u32 v[4:5], s[6:7], s4, v8, v[4:5]
	;; [unrolled: 33-line block ×5, first 2 shown]
	v_add_u32_e32 v5, s2, v5
	v_accvgpr_read_b32 v11, a9
	global_store_dwordx2 v[4:5], v[6:7], off
	v_accvgpr_read_b32 v10, a8
	s_waitcnt lgkmcnt(0)
	v_mul_f32_e32 v6, v11, v1
	v_fmac_f32_e32 v6, v10, v0
	v_mul_f32_e32 v0, v11, v0
	v_fma_f32 v0, v10, v1, -v0
	v_cvt_f64_f32_e32 v[6:7], v6
	v_cvt_f64_f32_e32 v[0:1], v0
	v_mul_f64 v[6:7], v[6:7], s[0:1]
	v_mul_f64 v[0:1], v[0:1], s[0:1]
	v_accvgpr_read_b32 v11, a5
	v_cvt_f32_f64_e32 v6, v[6:7]
	v_cvt_f32_f64_e32 v7, v[0:1]
	v_accvgpr_read_b32 v10, a4
	v_mul_f32_e32 v0, v11, v3
	v_fmac_f32_e32 v0, v10, v2
	v_mad_u64_u32 v[4:5], s[6:7], s4, v8, v[4:5]
	v_cvt_f64_f32_e32 v[0:1], v0
	v_add_u32_e32 v5, s2, v5
	v_mul_f64 v[0:1], v[0:1], s[0:1]
	global_store_dwordx2 v[4:5], v[6:7], off
	v_cvt_f32_f64_e32 v6, v[0:1]
	v_mul_f32_e32 v0, v11, v2
	v_fma_f32 v0, v10, v3, -v0
	v_cvt_f64_f32_e32 v[0:1], v0
	v_mul_f64 v[0:1], v[0:1], s[0:1]
	v_cvt_f32_f64_e32 v7, v[0:1]
	v_add_u32_e32 v0, 0x2800, v80
	ds_read2_b64 v[0:3], v0 offset0:148 offset1:250
	v_mad_u64_u32 v[4:5], s[6:7], s4, v8, v[4:5]
	v_add_u32_e32 v5, s2, v5
	v_accvgpr_read_b32 v11, a7
	global_store_dwordx2 v[4:5], v[6:7], off
	v_accvgpr_read_b32 v10, a6
	s_waitcnt lgkmcnt(0)
	v_mul_f32_e32 v6, v11, v1
	v_fmac_f32_e32 v6, v10, v0
	v_mul_f32_e32 v0, v11, v0
	v_fma_f32 v0, v10, v1, -v0
	v_cvt_f64_f32_e32 v[6:7], v6
	v_cvt_f64_f32_e32 v[0:1], v0
	v_mul_f64 v[6:7], v[6:7], s[0:1]
	v_mul_f64 v[0:1], v[0:1], s[0:1]
	v_cvt_f32_f64_e32 v6, v[6:7]
	v_cvt_f32_f64_e32 v7, v[0:1]
	v_mad_u64_u32 v[0:1], s[6:7], s4, v8, v[4:5]
	v_add_u32_e32 v1, s2, v1
	global_store_dwordx2 v[0:1], v[6:7], off
	v_accvgpr_read_b32 v7, a3
	v_accvgpr_read_b32 v6, a2
	v_mul_f32_e32 v4, v7, v3
	v_fmac_f32_e32 v4, v6, v2
	v_mul_f32_e32 v2, v7, v2
	v_fma_f32 v2, v6, v3, -v2
	v_cvt_f64_f32_e32 v[4:5], v4
	v_cvt_f64_f32_e32 v[2:3], v2
	v_mul_f64 v[4:5], v[4:5], s[0:1]
	v_mul_f64 v[2:3], v[2:3], s[0:1]
	v_cvt_f32_f64_e32 v4, v[4:5]
	v_cvt_f32_f64_e32 v5, v[2:3]
	ds_read_b64 v[2:3], v80 offset:13056
	v_mad_u64_u32 v[0:1], s[6:7], s4, v8, v[0:1]
	v_add_u32_e32 v1, s2, v1
	v_accvgpr_read_b32 v7, a1
	global_store_dwordx2 v[0:1], v[4:5], off
	v_accvgpr_read_b32 v6, a0
	s_waitcnt lgkmcnt(0)
	v_mul_f32_e32 v4, v7, v3
	v_fmac_f32_e32 v4, v6, v2
	v_mul_f32_e32 v2, v7, v2
	v_fma_f32 v2, v6, v3, -v2
	v_cvt_f64_f32_e32 v[4:5], v4
	v_cvt_f64_f32_e32 v[2:3], v2
	v_mul_f64 v[4:5], v[4:5], s[0:1]
	v_mul_f64 v[2:3], v[2:3], s[0:1]
	v_mad_u64_u32 v[0:1], s[0:1], s4, v8, v[0:1]
	v_cvt_f32_f64_e32 v4, v[4:5]
	v_cvt_f32_f64_e32 v5, v[2:3]
	v_add_u32_e32 v1, s2, v1
	global_store_dwordx2 v[0:1], v[4:5], off
.LBB0_10:
	s_endpgm
	.section	.rodata,"a",@progbits
	.p2align	6, 0x0
	.amdhsa_kernel bluestein_single_fwd_len1734_dim1_sp_op_CI_CI
		.amdhsa_group_segment_fixed_size 13872
		.amdhsa_private_segment_fixed_size 0
		.amdhsa_kernarg_size 104
		.amdhsa_user_sgpr_count 2
		.amdhsa_user_sgpr_dispatch_ptr 0
		.amdhsa_user_sgpr_queue_ptr 0
		.amdhsa_user_sgpr_kernarg_segment_ptr 1
		.amdhsa_user_sgpr_dispatch_id 0
		.amdhsa_user_sgpr_kernarg_preload_length 0
		.amdhsa_user_sgpr_kernarg_preload_offset 0
		.amdhsa_user_sgpr_private_segment_size 0
		.amdhsa_uses_dynamic_stack 0
		.amdhsa_enable_private_segment 0
		.amdhsa_system_sgpr_workgroup_id_x 1
		.amdhsa_system_sgpr_workgroup_id_y 0
		.amdhsa_system_sgpr_workgroup_id_z 0
		.amdhsa_system_sgpr_workgroup_info 0
		.amdhsa_system_vgpr_workitem_id 0
		.amdhsa_next_free_vgpr 378
		.amdhsa_next_free_sgpr 70
		.amdhsa_accum_offset 256
		.amdhsa_reserve_vcc 1
		.amdhsa_float_round_mode_32 0
		.amdhsa_float_round_mode_16_64 0
		.amdhsa_float_denorm_mode_32 3
		.amdhsa_float_denorm_mode_16_64 3
		.amdhsa_dx10_clamp 1
		.amdhsa_ieee_mode 1
		.amdhsa_fp16_overflow 0
		.amdhsa_tg_split 0
		.amdhsa_exception_fp_ieee_invalid_op 0
		.amdhsa_exception_fp_denorm_src 0
		.amdhsa_exception_fp_ieee_div_zero 0
		.amdhsa_exception_fp_ieee_overflow 0
		.amdhsa_exception_fp_ieee_underflow 0
		.amdhsa_exception_fp_ieee_inexact 0
		.amdhsa_exception_int_div_zero 0
	.end_amdhsa_kernel
	.text
.Lfunc_end0:
	.size	bluestein_single_fwd_len1734_dim1_sp_op_CI_CI, .Lfunc_end0-bluestein_single_fwd_len1734_dim1_sp_op_CI_CI
                                        ; -- End function
	.section	.AMDGPU.csdata,"",@progbits
; Kernel info:
; codeLenInByte = 27196
; NumSgprs: 76
; NumVgprs: 256
; NumAgprs: 122
; TotalNumVgprs: 378
; ScratchSize: 0
; MemoryBound: 0
; FloatMode: 240
; IeeeMode: 1
; LDSByteSize: 13872 bytes/workgroup (compile time only)
; SGPRBlocks: 9
; VGPRBlocks: 47
; NumSGPRsForWavesPerEU: 76
; NumVGPRsForWavesPerEU: 378
; AccumOffset: 256
; Occupancy: 1
; WaveLimiterHint : 1
; COMPUTE_PGM_RSRC2:SCRATCH_EN: 0
; COMPUTE_PGM_RSRC2:USER_SGPR: 2
; COMPUTE_PGM_RSRC2:TRAP_HANDLER: 0
; COMPUTE_PGM_RSRC2:TGID_X_EN: 1
; COMPUTE_PGM_RSRC2:TGID_Y_EN: 0
; COMPUTE_PGM_RSRC2:TGID_Z_EN: 0
; COMPUTE_PGM_RSRC2:TIDIG_COMP_CNT: 0
; COMPUTE_PGM_RSRC3_GFX90A:ACCUM_OFFSET: 63
; COMPUTE_PGM_RSRC3_GFX90A:TG_SPLIT: 0
	.text
	.p2alignl 6, 3212836864
	.fill 256, 4, 3212836864
	.type	__hip_cuid_f9cea60b82ffbd1c,@object ; @__hip_cuid_f9cea60b82ffbd1c
	.section	.bss,"aw",@nobits
	.globl	__hip_cuid_f9cea60b82ffbd1c
__hip_cuid_f9cea60b82ffbd1c:
	.byte	0                               ; 0x0
	.size	__hip_cuid_f9cea60b82ffbd1c, 1

	.ident	"AMD clang version 19.0.0git (https://github.com/RadeonOpenCompute/llvm-project roc-6.4.0 25133 c7fe45cf4b819c5991fe208aaa96edf142730f1d)"
	.section	".note.GNU-stack","",@progbits
	.addrsig
	.addrsig_sym __hip_cuid_f9cea60b82ffbd1c
	.amdgpu_metadata
---
amdhsa.kernels:
  - .agpr_count:     122
    .args:
      - .actual_access:  read_only
        .address_space:  global
        .offset:         0
        .size:           8
        .value_kind:     global_buffer
      - .actual_access:  read_only
        .address_space:  global
        .offset:         8
        .size:           8
        .value_kind:     global_buffer
      - .actual_access:  read_only
        .address_space:  global
        .offset:         16
        .size:           8
        .value_kind:     global_buffer
      - .actual_access:  read_only
        .address_space:  global
        .offset:         24
        .size:           8
        .value_kind:     global_buffer
      - .actual_access:  read_only
        .address_space:  global
        .offset:         32
        .size:           8
        .value_kind:     global_buffer
      - .offset:         40
        .size:           8
        .value_kind:     by_value
      - .address_space:  global
        .offset:         48
        .size:           8
        .value_kind:     global_buffer
      - .address_space:  global
        .offset:         56
        .size:           8
        .value_kind:     global_buffer
      - .address_space:  global
        .offset:         64
        .size:           8
        .value_kind:     global_buffer
      - .address_space:  global
        .offset:         72
        .size:           8
        .value_kind:     global_buffer
      - .offset:         80
        .size:           4
        .value_kind:     by_value
      - .address_space:  global
        .offset:         88
        .size:           8
        .value_kind:     global_buffer
      - .address_space:  global
        .offset:         96
        .size:           8
        .value_kind:     global_buffer
    .group_segment_fixed_size: 13872
    .kernarg_segment_align: 8
    .kernarg_segment_size: 104
    .language:       OpenCL C
    .language_version:
      - 2
      - 0
    .max_flat_workgroup_size: 102
    .name:           bluestein_single_fwd_len1734_dim1_sp_op_CI_CI
    .private_segment_fixed_size: 0
    .sgpr_count:     76
    .sgpr_spill_count: 0
    .symbol:         bluestein_single_fwd_len1734_dim1_sp_op_CI_CI.kd
    .uniform_work_group_size: 1
    .uses_dynamic_stack: false
    .vgpr_count:     378
    .vgpr_spill_count: 0
    .wavefront_size: 64
amdhsa.target:   amdgcn-amd-amdhsa--gfx950
amdhsa.version:
  - 1
  - 2
...

	.end_amdgpu_metadata
